;; amdgpu-corpus repo=FlagOpen/FlagGems kind=triton arch=gfx90a opt=O3 lang=triton
	.amdgcn_target "amdgcn-amd-amdhsa--gfx90a"
	.amdhsa_code_object_version 5
	.text
	.globl	_attn_fwd                       ; -- Begin function _attn_fwd
	.p2align	8
	.type	_attn_fwd,@function
_attn_fwd:                              ; @_attn_fwd
.Lfunc_begin0:
	.cfi_sections .debug_frame
	.cfi_startproc
; %bb.139:
	.file	1 "/root/src/amdgpu-assembly/repos/FlagOpen__FlagGems/triton_aot_kernels" "attention_aot.py"
	.loc	1 117 0 prologue_end            ; attention_aot.py:117:0
	s_load_dwordx2 s[6:7], s[4:5], 0x0
	s_load_dwordx4 s[8:11], s[4:5], 0x8
	s_load_dwordx2 s[12:13], s[4:5], 0x18
	s_load_dword s14, s[4:5], 0x20
	s_waitcnt lgkmcnt(0)
	s_branch .LBB0_0
	.loc	1 0 0 is_stmt 0                 ; :0:0
.Ltmp0:
	.p2align	8
; %bb.140:
.LBB0_0:
	s_load_dword s12, s[4:5], 0x8c
.Ltmp1:
	.loc	1 161 25 is_stmt 1              ; attention_aot.py:161:25
	s_abs_i32 s17, s16
	s_load_dword s78, s[4:5], 0x94
	s_load_dwordx4 s[0:3], s[4:5], 0x38
	.loc	1 175 33                        ; attention_aot.py:175:33
	v_and_b32_e32 v180, 0x7f, v0
	v_lshrrev_b32_e32 v181, 7, v0
	.loc	1 161 25                        ; attention_aot.py:161:25
	s_waitcnt lgkmcnt(0)
	s_abs_i32 s13, s12
	v_cvt_f32_u32_e32 v1, s13
	s_sub_i32 s19, 0, s13
	s_xor_b32 s18, s16, s12
	s_ashr_i32 s18, s18, 31
	v_rcp_iflag_f32_e32 v1, v1
	.loc	1 186 35                        ; attention_aot.py:186:35
	v_mul_lo_u32 v2, s3, v180
	.loc	1 186 10 is_stmt 0              ; attention_aot.py:186:10
	v_ashrrev_i32_e32 v3, 31, v2
	v_lshlrev_b64 v[2:3], 1, v[2:3]
	.loc	1 161 25 is_stmt 1              ; attention_aot.py:161:25
	v_mul_f32_e32 v1, 0x4f7ffffe, v1
	v_cvt_u32_f32_e32 v1, v1
	v_mov_b32_e32 v4, 0
	v_readfirstlane_b32 s20, v1
	s_mul_i32 s19, s19, s20
	s_mul_hi_u32 s19, s20, s19
	s_add_i32 s20, s20, s19
	s_mul_hi_u32 s19, s17, s20
	s_mul_i32 s20, s19, s13
	s_sub_i32 s17, s17, s20
	s_add_i32 s20, s19, 1
	s_sub_i32 s21, s17, s13
	s_cmp_ge_u32 s17, s13
	s_cselect_b32 s19, s20, s19
	s_cselect_b32 s17, s21, s17
	s_add_i32 s20, s19, 1
	s_cmp_ge_u32 s17, s13
	s_cselect_b32 s13, s20, s19
	s_xor_b32 s13, s13, s18
	s_sub_i32 s33, s13, s18
	.loc	1 162 23                        ; attention_aot.py:162:23
	s_mul_i32 s12, s33, s12
	s_sub_i32 s17, s16, s12
	.loc	1 166 32                        ; attention_aot.py:166:32
	s_mul_hi_i32 s13, s33, s0
	s_mul_i32 s12, s33, s0
	.loc	1 166 72 is_stmt 0              ; attention_aot.py:166:72
	s_mul_hi_i32 s19, s17, s1
	s_mul_i32 s18, s17, s1
	.loc	1 178 23 is_stmt 1              ; attention_aot.py:178:23
	s_lshl_b32 s79, s15, 7
	.loc	1 184 10                        ; attention_aot.py:184:10
	s_lshl_b64 s[0:1], s[12:13], 1
	s_add_u32 s6, s6, s0
	s_addc_u32 s7, s7, s1
	s_lshl_b64 s[0:1], s[18:19], 1
	.loc	1 178 33                        ; attention_aot.py:178:33
	v_or_b32_e32 v5, s79, v181
	.loc	1 184 10                        ; attention_aot.py:184:10
	s_add_u32 s6, s6, s0
	.loc	1 179 27                        ; attention_aot.py:179:27
	v_cmp_gt_i32_e32 vcc, s78, v5
	.loc	1 184 10                        ; attention_aot.py:184:10
	s_addc_u32 s7, s7, s1
	v_mov_b32_e32 v1, 0
	.loc	1 230 20                        ; attention_aot.py:230:20
	s_and_saveexec_b64 s[0:1], vcc
	s_cbranch_execz .LBB0_2
; %bb.1:
	.loc	1 0 20 is_stmt 0                ; attention_aot.py:0:20
	v_mul_lo_u32 v6, s2, v5
	v_ashrrev_i32_e32 v7, 31, v6
	v_lshlrev_b64 v[6:7], 1, v[6:7]
	v_mov_b32_e32 v4, s7
	v_add_co_u32_e32 v6, vcc, s6, v6
	v_addc_co_u32_e32 v4, vcc, v4, v7, vcc
	v_add_co_u32_e32 v6, vcc, v6, v2
	v_addc_co_u32_e32 v7, vcc, v4, v3, vcc
	.loc	1 230 20                        ; attention_aot.py:230:20
	global_load_ushort v4, v[6:7], off
.LBB0_2:
	.loc	1 0 20                          ; attention_aot.py:0:20
	s_or_b64 exec, exec, s[0:1]
	.loc	1 178 33 is_stmt 1              ; attention_aot.py:178:33
	v_or3_b32 v6, v181, s79, 4
	.loc	1 179 27                        ; attention_aot.py:179:27
	v_cmp_gt_i32_e32 vcc, s78, v6
	.loc	1 230 20                        ; attention_aot.py:230:20
	s_and_saveexec_b64 s[0:1], vcc
	s_cbranch_execz .LBB0_4
; %bb.3:
	.loc	1 185 28                        ; attention_aot.py:185:28
	v_mul_lo_u32 v6, s2, v6
	.loc	1 185 10 is_stmt 0              ; attention_aot.py:185:10
	v_ashrrev_i32_e32 v7, 31, v6
	v_lshlrev_b64 v[6:7], 1, v[6:7]
	v_mov_b32_e32 v1, s7
	v_add_co_u32_e32 v6, vcc, s6, v6
	v_addc_co_u32_e32 v1, vcc, v1, v7, vcc
	.loc	1 186 10 is_stmt 1              ; attention_aot.py:186:10
	v_add_co_u32_e32 v6, vcc, v6, v2
	v_addc_co_u32_e32 v7, vcc, v1, v3, vcc
	.loc	1 230 20                        ; attention_aot.py:230:20
	global_load_ushort v1, v[6:7], off
.LBB0_4:
	.loc	1 0 20 is_stmt 0                ; attention_aot.py:0:20
	s_or_b64 exec, exec, s[0:1]
	.loc	1 178 33 is_stmt 1              ; attention_aot.py:178:33
	v_or3_b32 v8, v181, s79, 8
	.loc	1 179 27                        ; attention_aot.py:179:27
	v_cmp_gt_i32_e32 vcc, s78, v8
	v_mov_b32_e32 v6, 0
	v_mov_b32_e32 v7, 0
	.loc	1 230 20                        ; attention_aot.py:230:20
	s_and_saveexec_b64 s[0:1], vcc
	s_cbranch_execz .LBB0_6
; %bb.5:
	.loc	1 185 28                        ; attention_aot.py:185:28
	v_mul_lo_u32 v8, s2, v8
	.loc	1 185 10 is_stmt 0              ; attention_aot.py:185:10
	v_ashrrev_i32_e32 v9, 31, v8
	v_lshlrev_b64 v[8:9], 1, v[8:9]
	v_mov_b32_e32 v7, s7
	v_add_co_u32_e32 v8, vcc, s6, v8
	v_addc_co_u32_e32 v7, vcc, v7, v9, vcc
	.loc	1 186 10 is_stmt 1              ; attention_aot.py:186:10
	v_add_co_u32_e32 v8, vcc, v8, v2
	v_addc_co_u32_e32 v9, vcc, v7, v3, vcc
	.loc	1 230 20                        ; attention_aot.py:230:20
	global_load_ushort v7, v[8:9], off
.LBB0_6:
	.loc	1 0 20 is_stmt 0                ; attention_aot.py:0:20
	s_or_b64 exec, exec, s[0:1]
	.loc	1 178 33 is_stmt 1              ; attention_aot.py:178:33
	v_or3_b32 v8, v181, s79, 12
	.loc	1 179 27                        ; attention_aot.py:179:27
	v_cmp_gt_i32_e32 vcc, s78, v8
	.loc	1 230 20                        ; attention_aot.py:230:20
	s_and_saveexec_b64 s[0:1], vcc
	s_cbranch_execz .LBB0_8
; %bb.7:
	.loc	1 185 28                        ; attention_aot.py:185:28
	v_mul_lo_u32 v8, s2, v8
	.loc	1 185 10 is_stmt 0              ; attention_aot.py:185:10
	v_ashrrev_i32_e32 v9, 31, v8
	v_lshlrev_b64 v[8:9], 1, v[8:9]
	v_mov_b32_e32 v6, s7
	v_add_co_u32_e32 v8, vcc, s6, v8
	v_addc_co_u32_e32 v6, vcc, v6, v9, vcc
	.loc	1 186 10 is_stmt 1              ; attention_aot.py:186:10
	v_add_co_u32_e32 v8, vcc, v8, v2
	v_addc_co_u32_e32 v9, vcc, v6, v3, vcc
	.loc	1 230 20                        ; attention_aot.py:230:20
	global_load_ushort v6, v[8:9], off
.LBB0_8:
	.loc	1 0 20 is_stmt 0                ; attention_aot.py:0:20
	s_or_b64 exec, exec, s[0:1]
	.loc	1 178 33 is_stmt 1              ; attention_aot.py:178:33
	v_or3_b32 v10, v181, s79, 16
	.loc	1 179 27                        ; attention_aot.py:179:27
	v_cmp_gt_i32_e32 vcc, s78, v10
	v_mov_b32_e32 v8, 0
	v_mov_b32_e32 v9, 0
	.loc	1 230 20                        ; attention_aot.py:230:20
	s_and_saveexec_b64 s[0:1], vcc
	s_cbranch_execz .LBB0_10
; %bb.9:
	.loc	1 185 28                        ; attention_aot.py:185:28
	v_mul_lo_u32 v10, s2, v10
	.loc	1 185 10 is_stmt 0              ; attention_aot.py:185:10
	v_ashrrev_i32_e32 v11, 31, v10
	v_lshlrev_b64 v[10:11], 1, v[10:11]
	v_mov_b32_e32 v9, s7
	v_add_co_u32_e32 v10, vcc, s6, v10
	v_addc_co_u32_e32 v9, vcc, v9, v11, vcc
	.loc	1 186 10 is_stmt 1              ; attention_aot.py:186:10
	v_add_co_u32_e32 v10, vcc, v10, v2
	v_addc_co_u32_e32 v11, vcc, v9, v3, vcc
	.loc	1 230 20                        ; attention_aot.py:230:20
	global_load_ushort v9, v[10:11], off
.LBB0_10:
	.loc	1 0 20 is_stmt 0                ; attention_aot.py:0:20
	;; [unrolled: 50-line block ×7, first 2 shown]
	s_or_b64 exec, exec, s[0:1]
	.loc	1 178 33 is_stmt 1              ; attention_aot.py:178:33
	v_or3_b32 v20, v181, s79, 60
	.loc	1 179 27                        ; attention_aot.py:179:27
	v_cmp_gt_i32_e32 vcc, s78, v20
	.loc	1 230 20                        ; attention_aot.py:230:20
	s_and_saveexec_b64 s[0:1], vcc
	s_cbranch_execz .LBB0_32
; %bb.31:
	.loc	1 185 28                        ; attention_aot.py:185:28
	v_mul_lo_u32 v20, s2, v20
	.loc	1 185 10 is_stmt 0              ; attention_aot.py:185:10
	v_ashrrev_i32_e32 v21, 31, v20
	v_lshlrev_b64 v[20:21], 1, v[20:21]
	v_mov_b32_e32 v18, s7
	v_add_co_u32_e32 v20, vcc, s6, v20
	v_addc_co_u32_e32 v18, vcc, v18, v21, vcc
	.loc	1 186 10 is_stmt 1              ; attention_aot.py:186:10
	v_add_co_u32_e32 v20, vcc, v20, v2
	v_addc_co_u32_e32 v21, vcc, v18, v3, vcc
	.loc	1 230 20                        ; attention_aot.py:230:20
	global_load_ushort v18, v[20:21], off
.LBB0_32:
	.loc	1 0 20 is_stmt 0                ; attention_aot.py:0:20
	s_or_b64 exec, exec, s[0:1]
	.loc	1 178 33 is_stmt 1              ; attention_aot.py:178:33
	v_or_b32_e32 v22, 64, v5
	.loc	1 179 27                        ; attention_aot.py:179:27
	v_cmp_gt_i32_e32 vcc, s78, v22
	v_mov_b32_e32 v20, 0
	v_mov_b32_e32 v21, 0
	.loc	1 230 20                        ; attention_aot.py:230:20
	s_and_saveexec_b64 s[0:1], vcc
	s_cbranch_execz .LBB0_34
; %bb.33:
	.loc	1 185 28                        ; attention_aot.py:185:28
	v_mul_lo_u32 v22, s2, v22
	.loc	1 185 10 is_stmt 0              ; attention_aot.py:185:10
	v_ashrrev_i32_e32 v23, 31, v22
	v_lshlrev_b64 v[22:23], 1, v[22:23]
	v_mov_b32_e32 v21, s7
	v_add_co_u32_e32 v22, vcc, s6, v22
	v_addc_co_u32_e32 v21, vcc, v21, v23, vcc
	.loc	1 186 10 is_stmt 1              ; attention_aot.py:186:10
	v_add_co_u32_e32 v22, vcc, v22, v2
	v_addc_co_u32_e32 v23, vcc, v21, v3, vcc
	.loc	1 230 20                        ; attention_aot.py:230:20
	global_load_ushort v21, v[22:23], off
.LBB0_34:
	.loc	1 0 20 is_stmt 0                ; attention_aot.py:0:20
	s_or_b64 exec, exec, s[0:1]
	.loc	1 178 33 is_stmt 1              ; attention_aot.py:178:33
	v_or_b32_e32 v22, 0x44, v5
	.loc	1 179 27                        ; attention_aot.py:179:27
	v_cmp_gt_i32_e32 vcc, s78, v22
	.loc	1 230 20                        ; attention_aot.py:230:20
	s_and_saveexec_b64 s[0:1], vcc
	s_cbranch_execz .LBB0_36
; %bb.35:
	.loc	1 185 28                        ; attention_aot.py:185:28
	v_mul_lo_u32 v22, s2, v22
	.loc	1 185 10 is_stmt 0              ; attention_aot.py:185:10
	v_ashrrev_i32_e32 v23, 31, v22
	v_lshlrev_b64 v[22:23], 1, v[22:23]
	v_mov_b32_e32 v20, s7
	v_add_co_u32_e32 v22, vcc, s6, v22
	v_addc_co_u32_e32 v20, vcc, v20, v23, vcc
	.loc	1 186 10 is_stmt 1              ; attention_aot.py:186:10
	v_add_co_u32_e32 v22, vcc, v22, v2
	v_addc_co_u32_e32 v23, vcc, v20, v3, vcc
	.loc	1 230 20                        ; attention_aot.py:230:20
	global_load_ushort v20, v[22:23], off
.LBB0_36:
	.loc	1 0 20 is_stmt 0                ; attention_aot.py:0:20
	s_or_b64 exec, exec, s[0:1]
	.loc	1 178 33 is_stmt 1              ; attention_aot.py:178:33
	v_or_b32_e32 v24, 0x48, v5
	.loc	1 179 27                        ; attention_aot.py:179:27
	v_cmp_gt_i32_e32 vcc, s78, v24
	v_mov_b32_e32 v22, 0
	v_mov_b32_e32 v23, 0
	.loc	1 230 20                        ; attention_aot.py:230:20
	s_and_saveexec_b64 s[0:1], vcc
	s_cbranch_execz .LBB0_38
; %bb.37:
	.loc	1 185 28                        ; attention_aot.py:185:28
	v_mul_lo_u32 v24, s2, v24
	.loc	1 185 10 is_stmt 0              ; attention_aot.py:185:10
	v_ashrrev_i32_e32 v25, 31, v24
	v_lshlrev_b64 v[24:25], 1, v[24:25]
	v_mov_b32_e32 v23, s7
	v_add_co_u32_e32 v24, vcc, s6, v24
	v_addc_co_u32_e32 v23, vcc, v23, v25, vcc
	.loc	1 186 10 is_stmt 1              ; attention_aot.py:186:10
	v_add_co_u32_e32 v24, vcc, v24, v2
	v_addc_co_u32_e32 v25, vcc, v23, v3, vcc
	.loc	1 230 20                        ; attention_aot.py:230:20
	global_load_ushort v23, v[24:25], off
.LBB0_38:
	.loc	1 0 20 is_stmt 0                ; attention_aot.py:0:20
	s_or_b64 exec, exec, s[0:1]
	.loc	1 178 33 is_stmt 1              ; attention_aot.py:178:33
	v_or_b32_e32 v24, 0x4c, v5
	;; [unrolled: 50-line block ×7, first 2 shown]
	.loc	1 179 27                        ; attention_aot.py:179:27
	v_cmp_gt_i32_e32 vcc, s78, v34
	.loc	1 230 20                        ; attention_aot.py:230:20
	s_and_saveexec_b64 s[0:1], vcc
	s_cbranch_execz .LBB0_60
; %bb.59:
	.loc	1 185 28                        ; attention_aot.py:185:28
	v_mul_lo_u32 v34, s2, v34
	.loc	1 185 10 is_stmt 0              ; attention_aot.py:185:10
	v_ashrrev_i32_e32 v35, 31, v34
	v_lshlrev_b64 v[34:35], 1, v[34:35]
	v_mov_b32_e32 v32, s7
	v_add_co_u32_e32 v34, vcc, s6, v34
	v_addc_co_u32_e32 v32, vcc, v32, v35, vcc
	.loc	1 186 10 is_stmt 1              ; attention_aot.py:186:10
	v_add_co_u32_e32 v34, vcc, v34, v2
	v_addc_co_u32_e32 v35, vcc, v32, v3, vcc
	.loc	1 230 20                        ; attention_aot.py:230:20
	global_load_ushort v32, v[34:35], off
.LBB0_60:
	.loc	1 0 20 is_stmt 0                ; attention_aot.py:0:20
	s_or_b64 exec, exec, s[0:1]
	.loc	1 178 33 is_stmt 1              ; attention_aot.py:178:33
	v_or_b32_e32 v34, 0x78, v5
	.loc	1 179 27                        ; attention_aot.py:179:27
	v_cmp_gt_i32_e32 vcc, s78, v34
	v_mov_b32_e32 v36, 0
	v_mov_b32_e32 v37, 0
	.loc	1 230 20                        ; attention_aot.py:230:20
	s_and_saveexec_b64 s[0:1], vcc
	s_cbranch_execz .LBB0_62
; %bb.61:
	.loc	1 185 28                        ; attention_aot.py:185:28
	v_mul_lo_u32 v34, s2, v34
	.loc	1 185 10 is_stmt 0              ; attention_aot.py:185:10
	v_ashrrev_i32_e32 v35, 31, v34
	v_lshlrev_b64 v[34:35], 1, v[34:35]
	v_mov_b32_e32 v37, s7
	v_add_co_u32_e32 v34, vcc, s6, v34
	v_addc_co_u32_e32 v35, vcc, v37, v35, vcc
	.loc	1 186 10 is_stmt 1              ; attention_aot.py:186:10
	v_add_co_u32_e32 v34, vcc, v34, v2
	v_addc_co_u32_e32 v35, vcc, v35, v3, vcc
	.loc	1 230 20                        ; attention_aot.py:230:20
	global_load_ushort v37, v[34:35], off
.LBB0_62:
	.loc	1 0 20 is_stmt 0                ; attention_aot.py:0:20
	s_or_b64 exec, exec, s[0:1]
	s_load_dword s80, s[4:5], 0x98
	.loc	1 178 33 is_stmt 1              ; attention_aot.py:178:33
	v_or_b32_e32 v5, 0x7c, v5
	v_and_b32_e32 v184, 0x180, v0
	.loc	1 179 27                        ; attention_aot.py:179:27
	v_cmp_gt_i32_e32 vcc, s78, v5
	.loc	1 230 20                        ; attention_aot.py:230:20
	s_and_saveexec_b64 s[0:1], vcc
	s_cbranch_execz .LBB0_64
; %bb.63:
	.loc	1 185 28                        ; attention_aot.py:185:28
	v_mul_lo_u32 v34, s2, v5
	.loc	1 185 10 is_stmt 0              ; attention_aot.py:185:10
	v_ashrrev_i32_e32 v35, 31, v34
	v_lshlrev_b64 v[34:35], 1, v[34:35]
	v_mov_b32_e32 v5, s7
	v_add_co_u32_e32 v34, vcc, s6, v34
	v_addc_co_u32_e32 v5, vcc, v5, v35, vcc
	.loc	1 186 10 is_stmt 1              ; attention_aot.py:186:10
	v_add_co_u32_e32 v2, vcc, v34, v2
	v_addc_co_u32_e32 v3, vcc, v5, v3, vcc
	.loc	1 230 20                        ; attention_aot.py:230:20
	global_load_ushort v36, v[2:3], off
.LBB0_64:
	.loc	1 0 20 is_stmt 0                ; attention_aot.py:0:20
	s_or_b64 exec, exec, s[0:1]
	.loc	1 230 20                        ; attention_aot.py:230:20
	v_lshlrev_b32_e32 v34, 1, v0
	v_lshrrev_b32_e32 v2, 4, v184
	v_xor_b32_e32 v2, v34, v2
	v_add_u32_e32 v3, 0, v2
	s_waitcnt vmcnt(0)
	ds_write_b16 v3, v4
	ds_write_b16 v3, v9 offset:4096
	ds_write_b16 v3, v13 offset:8192
	;; [unrolled: 1-line block ×7, first 2 shown]
	v_xad_u32 v3, v2, 32, 0
	ds_write_b16 v3, v1 offset:1024
	ds_write_b16 v3, v8 offset:5120
	;; [unrolled: 1-line block ×8, first 2 shown]
	v_xad_u32 v1, v2, 64, 0
	.loc	1 175 33 is_stmt 1              ; attention_aot.py:175:33
	v_and_b32_e32 v185, 31, v0
	.loc	1 230 20                        ; attention_aot.py:230:20
	ds_write_b16 v1, v7 offset:2048
	ds_write_b16 v1, v11 offset:6144
	;; [unrolled: 1-line block ×8, first 2 shown]
	v_xor_b32_e32 v1, 0x60, v2
	v_and_b32_e32 v188, 0xc0, v0
	.loc	1 180 26                        ; attention_aot.py:180:26
	v_and_b32_e32 v35, 32, v0
	.loc	1 230 20                        ; attention_aot.py:230:20
	v_add_u32_e32 v1, 0, v1
.Ltmp2:
	.loc	1 50 33                         ; attention_aot.py:50:33 @[ attention_aot.py:258:12 ]
	s_waitcnt lgkmcnt(0)
	s_cmp_gt_i32 s80, 0
	v_lshlrev_b32_e32 v186, 2, v185
	v_lshlrev_b32_e32 v187, 1, v188
.Ltmp3:
	.loc	1 230 20                        ; attention_aot.py:230:20
	ds_write_b16 v1, v6 offset:3072
	ds_write_b16 v1, v10 offset:7168
	;; [unrolled: 1-line block ×8, first 2 shown]
	s_waitcnt lgkmcnt(0)
	s_barrier
.Ltmp4:
	.loc	1 50 33                         ; attention_aot.py:50:33 @[ attention_aot.py:258:12 ]
	s_cbranch_scc1 .LBB0_66
.Ltmp5:
; %bb.65:                               ; %.._crit_edge_crit_edge
	.loc	1 0 33 is_stmt 0                ; attention_aot.py:0:33
	s_mov_b64 s[0:1], 0
	s_branch .LBB0_67
.LBB0_66:
	s_mov_b64 s[0:1], -1
.LBB0_67:                               ; %Flow
	s_load_dwordx4 s[68:71], s[4:5], 0x28
	v_lshrrev_b32_e32 v182, 3, v35
	v_and_b32_e32 v183, 64, v0
	s_andn2_b64 vcc, exec, s[0:1]
	v_mov_b32_e32 v144, 0xff800000
	v_mov_b32_e32 v36, 1.0
	v_mov_b32_e32 v17, 0
	v_mov_b32_e32 v16, 0
	v_mov_b32_e32 v15, 0
	v_mov_b32_e32 v14, 0
	v_mov_b32_e32 v13, 0
	v_mov_b32_e32 v12, 0
	v_mov_b32_e32 v11, 0
	v_mov_b32_e32 v10, 0
	v_mov_b32_e32 v9, 0
	v_mov_b32_e32 v8, 0
	v_mov_b32_e32 v7, 0
	v_mov_b32_e32 v6, 0
	v_mov_b32_e32 v5, 0
	v_mov_b32_e32 v4, 0
	v_mov_b32_e32 v3, 0
	v_mov_b32_e32 v2, 0
	v_mov_b32_e32 v33, 0
	v_mov_b32_e32 v32, 0
	v_mov_b32_e32 v31, 0
	v_mov_b32_e32 v30, 0
	v_mov_b32_e32 v29, 0
	v_mov_b32_e32 v28, 0
	v_mov_b32_e32 v27, 0
	v_mov_b32_e32 v26, 0
	v_mov_b32_e32 v25, 0
	v_mov_b32_e32 v24, 0
	v_mov_b32_e32 v23, 0
	v_mov_b32_e32 v22, 0
	v_mov_b32_e32 v21, 0
	v_mov_b32_e32 v20, 0
	v_mov_b32_e32 v19, 0
	v_mov_b32_e32 v18, 0
	s_cbranch_vccnz .LBB0_134
; %bb.68:                               ; %.lr.ph
	s_load_dwordx4 s[0:3], s[4:5], 0x48
	s_load_dwordx2 s[6:7], s[4:5], 0x60
	.loc	1 192 24 is_stmt 1              ; attention_aot.py:192:24
	v_lshrrev_b32_e32 v1, 6, v0
	.loc	1 180 26                        ; attention_aot.py:180:26
	v_and_b32_e32 v189, 63, v0
	.loc	1 192 24                        ; attention_aot.py:192:24
	v_or_b32_e32 v7, 0x78, v1
	.loc	1 191 28                        ; attention_aot.py:191:28
	s_waitcnt lgkmcnt(0)
	v_mul_lo_u32 v8, s2, v189
	.loc	1 197 28                        ; attention_aot.py:197:28
	v_mul_lo_u32 v14, s6, v181
	v_mad_u64_u32 v[46:47], s[18:19], s6, 60, v[14:15]
	.loc	1 198 35                        ; attention_aot.py:198:35
	v_mul_lo_u32 v48, s7, v180
	.loc	1 197 10                        ; attention_aot.py:197:10
	v_ashrrev_i32_e32 v47, 31, v46
	.loc	1 198 10                        ; attention_aot.py:198:10
	v_ashrrev_i32_e32 v49, 31, v48
	.loc	1 197 28                        ; attention_aot.py:197:28
	v_mad_u64_u32 v[44:45], s[18:19], s6, 56, v[14:15]
.Ltmp6:
	.loc	1 50 33                         ; attention_aot.py:50:33 @[ attention_aot.py:258:12 ]
	v_lshlrev_b64 v[46:47], 1, v[46:47]
	v_lshlrev_b64 v[48:49], 1, v[48:49]
.Ltmp7:
	.loc	1 197 10                        ; attention_aot.py:197:10
	v_ashrrev_i32_e32 v45, 31, v44
.Ltmp8:
	.loc	1 50 33                         ; attention_aot.py:50:33 @[ attention_aot.py:258:12 ]
	v_add_co_u32_e32 v46, vcc, v46, v48
.Ltmp9:
	.loc	1 197 28                        ; attention_aot.py:197:28
	v_mad_u64_u32 v[42:43], s[18:19], s6, 52, v[14:15]
.Ltmp10:
	.loc	1 50 33                         ; attention_aot.py:50:33 @[ attention_aot.py:258:12 ]
	v_addc_co_u32_e32 v47, vcc, v47, v49, vcc
	v_lshlrev_b64 v[44:45], 1, v[44:45]
.Ltmp11:
	.loc	1 197 10                        ; attention_aot.py:197:10
	v_ashrrev_i32_e32 v43, 31, v42
.Ltmp12:
	.loc	1 50 33                         ; attention_aot.py:50:33 @[ attention_aot.py:258:12 ]
	v_add_co_u32_e32 v44, vcc, v44, v48
.Ltmp13:
	.loc	1 197 28                        ; attention_aot.py:197:28
	v_mad_u64_u32 v[40:41], s[18:19], s6, 48, v[14:15]
.Ltmp14:
	.loc	1 50 33                         ; attention_aot.py:50:33 @[ attention_aot.py:258:12 ]
	v_addc_co_u32_e32 v45, vcc, v45, v49, vcc
	v_lshlrev_b64 v[42:43], 1, v[42:43]
.Ltmp15:
	.loc	1 197 10                        ; attention_aot.py:197:10
	v_ashrrev_i32_e32 v41, 31, v40
.Ltmp16:
	.loc	1 50 33                         ; attention_aot.py:50:33 @[ attention_aot.py:258:12 ]
	v_add_co_u32_e32 v42, vcc, v42, v48
.Ltmp17:
	.loc	1 197 28                        ; attention_aot.py:197:28
	v_mad_u64_u32 v[38:39], s[18:19], s6, 44, v[14:15]
.Ltmp18:
	.loc	1 50 33                         ; attention_aot.py:50:33 @[ attention_aot.py:258:12 ]
	v_addc_co_u32_e32 v43, vcc, v43, v49, vcc
	v_lshlrev_b64 v[40:41], 1, v[40:41]
.Ltmp19:
	.loc	1 197 10                        ; attention_aot.py:197:10
	v_ashrrev_i32_e32 v39, 31, v38
.Ltmp20:
	.loc	1 50 33                         ; attention_aot.py:50:33 @[ attention_aot.py:258:12 ]
	v_add_co_u32_e32 v40, vcc, v40, v48
.Ltmp21:
	.loc	1 197 28                        ; attention_aot.py:197:28
	v_mad_u64_u32 v[36:37], s[18:19], s6, 40, v[14:15]
.Ltmp22:
	.loc	1 50 33                         ; attention_aot.py:50:33 @[ attention_aot.py:258:12 ]
	v_addc_co_u32_e32 v41, vcc, v41, v49, vcc
	v_lshlrev_b64 v[38:39], 1, v[38:39]
.Ltmp23:
	.loc	1 197 10                        ; attention_aot.py:197:10
	v_ashrrev_i32_e32 v37, 31, v36
.Ltmp24:
	.loc	1 50 33                         ; attention_aot.py:50:33 @[ attention_aot.py:258:12 ]
	v_add_co_u32_e32 v38, vcc, v38, v48
.Ltmp25:
	.loc	1 197 28                        ; attention_aot.py:197:28
	v_mad_u64_u32 v[32:33], s[18:19], s6, 36, v[14:15]
.Ltmp26:
	.loc	1 50 33                         ; attention_aot.py:50:33 @[ attention_aot.py:258:12 ]
	v_addc_co_u32_e32 v39, vcc, v39, v49, vcc
	v_lshlrev_b64 v[36:37], 1, v[36:37]
.Ltmp27:
	.loc	1 197 10                        ; attention_aot.py:197:10
	v_ashrrev_i32_e32 v33, 31, v32
.Ltmp28:
	.loc	1 50 33                         ; attention_aot.py:50:33 @[ attention_aot.py:258:12 ]
	v_add_co_u32_e32 v36, vcc, v36, v48
.Ltmp29:
	.loc	1 197 28                        ; attention_aot.py:197:28
	v_lshl_add_u32 v30, s6, 5, v14
.Ltmp30:
	.loc	1 50 33                         ; attention_aot.py:50:33 @[ attention_aot.py:258:12 ]
	v_addc_co_u32_e32 v37, vcc, v37, v49, vcc
	v_lshlrev_b64 v[32:33], 1, v[32:33]
.Ltmp31:
	.loc	1 197 10                        ; attention_aot.py:197:10
	v_ashrrev_i32_e32 v31, 31, v30
.Ltmp32:
	.loc	1 50 33                         ; attention_aot.py:50:33 @[ attention_aot.py:258:12 ]
	v_add_co_u32_e32 v32, vcc, v32, v48
.Ltmp33:
	.loc	1 197 28                        ; attention_aot.py:197:28
	v_mad_u64_u32 v[28:29], s[18:19], s6, 28, v[14:15]
.Ltmp34:
	.loc	1 50 33                         ; attention_aot.py:50:33 @[ attention_aot.py:258:12 ]
	v_addc_co_u32_e32 v33, vcc, v33, v49, vcc
	v_lshlrev_b64 v[30:31], 1, v[30:31]
.Ltmp35:
	.loc	1 197 10                        ; attention_aot.py:197:10
	v_ashrrev_i32_e32 v29, 31, v28
.Ltmp36:
	.loc	1 50 33                         ; attention_aot.py:50:33 @[ attention_aot.py:258:12 ]
	v_add_co_u32_e32 v30, vcc, v30, v48
.Ltmp37:
	.loc	1 197 28                        ; attention_aot.py:197:28
	v_mad_u64_u32 v[26:27], s[18:19], s6, 24, v[14:15]
.Ltmp38:
	.loc	1 50 33                         ; attention_aot.py:50:33 @[ attention_aot.py:258:12 ]
	v_addc_co_u32_e32 v31, vcc, v31, v49, vcc
	v_lshlrev_b64 v[28:29], 1, v[28:29]
.Ltmp39:
	.loc	1 197 10                        ; attention_aot.py:197:10
	v_ashrrev_i32_e32 v27, 31, v26
.Ltmp40:
	.loc	1 50 33                         ; attention_aot.py:50:33 @[ attention_aot.py:258:12 ]
	v_add_co_u32_e32 v28, vcc, v28, v48
.Ltmp41:
	.loc	1 197 28                        ; attention_aot.py:197:28
	v_mad_u64_u32 v[24:25], s[18:19], s6, 20, v[14:15]
.Ltmp42:
	.loc	1 50 33                         ; attention_aot.py:50:33 @[ attention_aot.py:258:12 ]
	v_addc_co_u32_e32 v29, vcc, v29, v49, vcc
	v_lshlrev_b64 v[26:27], 1, v[26:27]
.Ltmp43:
	.loc	1 197 10                        ; attention_aot.py:197:10
	v_ashrrev_i32_e32 v25, 31, v24
.Ltmp44:
	.loc	1 50 33                         ; attention_aot.py:50:33 @[ attention_aot.py:258:12 ]
	v_add_co_u32_e32 v26, vcc, v26, v48
.Ltmp45:
	.loc	1 197 28                        ; attention_aot.py:197:28
	v_lshl_add_u32 v22, s6, 4, v14
.Ltmp46:
	.loc	1 50 33                         ; attention_aot.py:50:33 @[ attention_aot.py:258:12 ]
	v_addc_co_u32_e32 v27, vcc, v27, v49, vcc
	v_lshlrev_b64 v[24:25], 1, v[24:25]
.Ltmp47:
	.loc	1 197 10                        ; attention_aot.py:197:10
	v_ashrrev_i32_e32 v23, 31, v22
.Ltmp48:
	.loc	1 50 33                         ; attention_aot.py:50:33 @[ attention_aot.py:258:12 ]
	v_add_co_u32_e32 v24, vcc, v24, v48
.Ltmp49:
	.loc	1 197 28                        ; attention_aot.py:197:28
	v_mad_u64_u32 v[20:21], s[18:19], s6, 12, v[14:15]
.Ltmp50:
	.loc	1 50 33                         ; attention_aot.py:50:33 @[ attention_aot.py:258:12 ]
	v_addc_co_u32_e32 v25, vcc, v25, v49, vcc
	v_lshlrev_b64 v[22:23], 1, v[22:23]
.Ltmp51:
	.loc	1 197 10                        ; attention_aot.py:197:10
	v_ashrrev_i32_e32 v21, 31, v20
.Ltmp52:
	.loc	1 50 33                         ; attention_aot.py:50:33 @[ attention_aot.py:258:12 ]
	v_add_co_u32_e32 v22, vcc, v22, v48
.Ltmp53:
	.loc	1 197 28                        ; attention_aot.py:197:28
	v_lshl_add_u32 v18, s6, 3, v14
.Ltmp54:
	.loc	1 50 33                         ; attention_aot.py:50:33 @[ attention_aot.py:258:12 ]
	v_addc_co_u32_e32 v23, vcc, v23, v49, vcc
	v_lshlrev_b64 v[20:21], 1, v[20:21]
.Ltmp55:
	.loc	1 197 10                        ; attention_aot.py:197:10
	v_ashrrev_i32_e32 v19, 31, v18
.Ltmp56:
	.loc	1 50 33                         ; attention_aot.py:50:33 @[ attention_aot.py:258:12 ]
	v_add_co_u32_e32 v20, vcc, v20, v48
.Ltmp57:
	.loc	1 197 28                        ; attention_aot.py:197:28
	v_lshl_add_u32 v16, s6, 2, v14
.Ltmp58:
	.loc	1 50 33                         ; attention_aot.py:50:33 @[ attention_aot.py:258:12 ]
	v_addc_co_u32_e32 v21, vcc, v21, v49, vcc
	v_lshlrev_b64 v[18:19], 1, v[18:19]
.Ltmp59:
	.loc	1 197 10                        ; attention_aot.py:197:10
	v_ashrrev_i32_e32 v17, 31, v16
.Ltmp60:
	.loc	1 50 33                         ; attention_aot.py:50:33 @[ attention_aot.py:258:12 ]
	v_add_co_u32_e32 v18, vcc, v18, v48
	v_addc_co_u32_e32 v19, vcc, v19, v49, vcc
	v_lshlrev_b64 v[16:17], 1, v[16:17]
.Ltmp61:
	.loc	1 197 10                        ; attention_aot.py:197:10
	v_ashrrev_i32_e32 v15, 31, v14
.Ltmp62:
	.loc	1 50 33                         ; attention_aot.py:50:33 @[ attention_aot.py:258:12 ]
	v_add_co_u32_e32 v16, vcc, v16, v48
	v_addc_co_u32_e32 v17, vcc, v17, v49, vcc
	v_lshlrev_b64 v[14:15], 1, v[14:15]
.Ltmp63:
	.loc	1 192 35                        ; attention_aot.py:192:35
	v_mul_lo_u32 v2, s3, v1
	s_mul_i32 s13, s3, 0x60
.Ltmp64:
	.loc	1 50 33                         ; attention_aot.py:50:33 @[ attention_aot.py:258:12 ]
	v_add_co_u32_e32 v48, vcc, v48, v14
.Ltmp65:
	.loc	1 192 35                        ; attention_aot.py:192:35
	v_mul_lo_u32 v14, s3, v7
	.loc	1 191 10                        ; attention_aot.py:191:10
	v_ashrrev_i32_e32 v9, 31, v8
	.loc	1 192 35                        ; attention_aot.py:192:35
	v_add_u32_e32 v6, s13, v2
	s_mul_i32 s13, s3, 0x70
.Ltmp66:
	.loc	1 50 33                         ; attention_aot.py:50:33 @[ attention_aot.py:258:12 ]
	v_addc_co_u32_e32 v49, vcc, v49, v15, vcc
.Ltmp67:
	.loc	1 192 10                        ; attention_aot.py:192:10
	v_ashrrev_i32_e32 v15, 31, v14
	.loc	1 192 35 is_stmt 0              ; attention_aot.py:192:35
	v_add_u32_e32 v12, s13, v2
.Ltmp68:
	.loc	1 50 33 is_stmt 1               ; attention_aot.py:50:33 @[ attention_aot.py:258:12 ]
	v_lshlrev_b64 v[14:15], 1, v[14:15]
	v_lshlrev_b64 v[8:9], 1, v[8:9]
.Ltmp69:
	.loc	1 192 24                        ; attention_aot.py:192:24
	v_or_b32_e32 v5, 0x68, v1
	.loc	1 192 10 is_stmt 0              ; attention_aot.py:192:10
	v_ashrrev_i32_e32 v13, 31, v12
.Ltmp70:
	.loc	1 50 33 is_stmt 1               ; attention_aot.py:50:33 @[ attention_aot.py:258:12 ]
	v_add_co_u32_e32 v14, vcc, v14, v8
.Ltmp71:
	.loc	1 192 35                        ; attention_aot.py:192:35
	v_mul_lo_u32 v10, s3, v5
.Ltmp72:
	.loc	1 50 33                         ; attention_aot.py:50:33 @[ attention_aot.py:258:12 ]
	v_addc_co_u32_e32 v15, vcc, v15, v9, vcc
	v_lshlrev_b64 v[12:13], 1, v[12:13]
.Ltmp73:
	.loc	1 192 10                        ; attention_aot.py:192:10
	v_ashrrev_i32_e32 v11, 31, v10
.Ltmp74:
	.loc	1 50 33                         ; attention_aot.py:50:33 @[ attention_aot.py:258:12 ]
	v_add_co_u32_e32 v12, vcc, v12, v8
	v_addc_co_u32_e32 v13, vcc, v13, v9, vcc
	v_lshlrev_b64 v[10:11], 1, v[10:11]
.Ltmp75:
	.loc	1 192 24                        ; attention_aot.py:192:24
	v_or_b32_e32 v3, 0x58, v1
	.loc	1 192 10 is_stmt 0              ; attention_aot.py:192:10
	v_ashrrev_i32_e32 v7, 31, v6
.Ltmp76:
	.loc	1 50 33 is_stmt 1               ; attention_aot.py:50:33 @[ attention_aot.py:258:12 ]
	v_add_co_u32_e32 v10, vcc, v10, v8
.Ltmp77:
	.loc	1 192 35                        ; attention_aot.py:192:35
	v_mul_lo_u32 v4, s3, v3
.Ltmp78:
	.loc	1 50 33                         ; attention_aot.py:50:33 @[ attention_aot.py:258:12 ]
	v_addc_co_u32_e32 v11, vcc, v11, v9, vcc
	v_lshlrev_b64 v[6:7], 1, v[6:7]
.Ltmp79:
	.loc	1 192 10                        ; attention_aot.py:192:10
	v_ashrrev_i32_e32 v5, 31, v4
.Ltmp80:
	.loc	1 50 33                         ; attention_aot.py:50:33 @[ attention_aot.py:258:12 ]
	v_add_co_u32_e32 v6, vcc, v6, v8
.Ltmp81:
	.loc	1 192 35                        ; attention_aot.py:192:35
	s_mul_i32 s12, s3, 0x50
.Ltmp82:
	.loc	1 50 33                         ; attention_aot.py:50:33 @[ attention_aot.py:258:12 ]
	v_addc_co_u32_e32 v7, vcc, v7, v9, vcc
	v_lshlrev_b64 v[4:5], 1, v[4:5]
	v_add_co_u32_e32 v50, vcc, v4, v8
.Ltmp83:
	.loc	1 192 35                        ; attention_aot.py:192:35
	v_add_u32_e32 v4, s12, v2
.Ltmp84:
	.loc	1 50 33                         ; attention_aot.py:50:33 @[ attention_aot.py:258:12 ]
	v_addc_co_u32_e32 v51, vcc, v5, v9, vcc
.Ltmp85:
	.loc	1 192 10                        ; attention_aot.py:192:10
	v_ashrrev_i32_e32 v5, 31, v4
.Ltmp86:
	.loc	1 50 33                         ; attention_aot.py:50:33 @[ attention_aot.py:258:12 ]
	v_lshlrev_b64 v[4:5], 1, v[4:5]
.Ltmp87:
	.loc	1 192 24                        ; attention_aot.py:192:24
	v_or_b32_e32 v3, 0x48, v1
.Ltmp88:
	.loc	1 50 33                         ; attention_aot.py:50:33 @[ attention_aot.py:258:12 ]
	v_add_co_u32_e32 v52, vcc, v4, v8
.Ltmp89:
	.loc	1 192 35                        ; attention_aot.py:192:35
	v_mul_lo_u32 v4, s3, v3
.Ltmp90:
	.loc	1 50 33                         ; attention_aot.py:50:33 @[ attention_aot.py:258:12 ]
	v_addc_co_u32_e32 v53, vcc, v5, v9, vcc
.Ltmp91:
	.loc	1 192 10                        ; attention_aot.py:192:10
	v_ashrrev_i32_e32 v5, 31, v4
.Ltmp92:
	.loc	1 50 33                         ; attention_aot.py:50:33 @[ attention_aot.py:258:12 ]
	v_lshlrev_b64 v[4:5], 1, v[4:5]
	v_add_co_u32_e32 v54, vcc, v4, v8
.Ltmp93:
	.loc	1 192 35                        ; attention_aot.py:192:35
	v_lshl_add_u32 v4, s3, 6, v2
.Ltmp94:
	.loc	1 50 33                         ; attention_aot.py:50:33 @[ attention_aot.py:258:12 ]
	v_addc_co_u32_e32 v55, vcc, v5, v9, vcc
.Ltmp95:
	.loc	1 192 10                        ; attention_aot.py:192:10
	v_ashrrev_i32_e32 v5, 31, v4
.Ltmp96:
	.loc	1 50 33                         ; attention_aot.py:50:33 @[ attention_aot.py:258:12 ]
	v_lshlrev_b64 v[4:5], 1, v[4:5]
.Ltmp97:
	.loc	1 192 24                        ; attention_aot.py:192:24
	v_or_b32_e32 v3, 56, v1
.Ltmp98:
	.loc	1 50 33                         ; attention_aot.py:50:33 @[ attention_aot.py:258:12 ]
	v_add_co_u32_e32 v56, vcc, v4, v8
.Ltmp99:
	.loc	1 192 35                        ; attention_aot.py:192:35
	v_mul_lo_u32 v4, s3, v3
.Ltmp100:
	.loc	1 50 33                         ; attention_aot.py:50:33 @[ attention_aot.py:258:12 ]
	v_addc_co_u32_e32 v57, vcc, v5, v9, vcc
.Ltmp101:
	.loc	1 192 10                        ; attention_aot.py:192:10
	v_ashrrev_i32_e32 v5, 31, v4
.Ltmp102:
	.loc	1 50 33                         ; attention_aot.py:50:33 @[ attention_aot.py:258:12 ]
	v_lshlrev_b64 v[4:5], 1, v[4:5]
	v_add_co_u32_e32 v58, vcc, v4, v8
	v_addc_co_u32_e32 v59, vcc, v5, v9, vcc
.Ltmp103:
	.loc	1 192 35                        ; attention_aot.py:192:35
	v_mad_u64_u32 v[4:5], s[12:13], s3, 48, v[2:3]
	.loc	1 192 10 is_stmt 0              ; attention_aot.py:192:10
	v_ashrrev_i32_e32 v5, 31, v4
.Ltmp104:
	.loc	1 50 33 is_stmt 1               ; attention_aot.py:50:33 @[ attention_aot.py:258:12 ]
	v_lshlrev_b64 v[4:5], 1, v[4:5]
.Ltmp105:
	.loc	1 192 24                        ; attention_aot.py:192:24
	v_or_b32_e32 v3, 40, v1
.Ltmp106:
	.loc	1 50 33                         ; attention_aot.py:50:33 @[ attention_aot.py:258:12 ]
	v_add_co_u32_e32 v60, vcc, v4, v8
.Ltmp107:
	.loc	1 192 35                        ; attention_aot.py:192:35
	v_mul_lo_u32 v4, s3, v3
.Ltmp108:
	.loc	1 50 33                         ; attention_aot.py:50:33 @[ attention_aot.py:258:12 ]
	v_addc_co_u32_e32 v61, vcc, v5, v9, vcc
.Ltmp109:
	.loc	1 192 10                        ; attention_aot.py:192:10
	v_ashrrev_i32_e32 v5, 31, v4
.Ltmp110:
	.loc	1 50 33                         ; attention_aot.py:50:33 @[ attention_aot.py:258:12 ]
	v_lshlrev_b64 v[4:5], 1, v[4:5]
	v_add_co_u32_e32 v62, vcc, v4, v8
.Ltmp111:
	.loc	1 192 35                        ; attention_aot.py:192:35
	v_lshl_add_u32 v4, s3, 5, v2
.Ltmp112:
	.loc	1 50 33                         ; attention_aot.py:50:33 @[ attention_aot.py:258:12 ]
	v_addc_co_u32_e32 v63, vcc, v5, v9, vcc
.Ltmp113:
	.loc	1 192 10                        ; attention_aot.py:192:10
	v_ashrrev_i32_e32 v5, 31, v4
.Ltmp114:
	.loc	1 50 33                         ; attention_aot.py:50:33 @[ attention_aot.py:258:12 ]
	v_lshlrev_b64 v[4:5], 1, v[4:5]
.Ltmp115:
	.loc	1 192 24                        ; attention_aot.py:192:24
	v_or_b32_e32 v3, 24, v1
.Ltmp116:
	.loc	1 50 33                         ; attention_aot.py:50:33 @[ attention_aot.py:258:12 ]
	v_add_co_u32_e32 v64, vcc, v4, v8
.Ltmp117:
	.loc	1 192 35                        ; attention_aot.py:192:35
	v_mul_lo_u32 v4, s3, v3
.Ltmp118:
	.loc	1 50 33                         ; attention_aot.py:50:33 @[ attention_aot.py:258:12 ]
	v_addc_co_u32_e32 v65, vcc, v5, v9, vcc
.Ltmp119:
	.loc	1 192 10                        ; attention_aot.py:192:10
	v_ashrrev_i32_e32 v5, 31, v4
.Ltmp120:
	.loc	1 50 33                         ; attention_aot.py:50:33 @[ attention_aot.py:258:12 ]
	v_lshlrev_b64 v[4:5], 1, v[4:5]
	v_add_co_u32_e32 v66, vcc, v4, v8
.Ltmp121:
	.loc	1 192 35                        ; attention_aot.py:192:35
	v_lshl_add_u32 v4, s3, 4, v2
.Ltmp122:
	.loc	1 50 33                         ; attention_aot.py:50:33 @[ attention_aot.py:258:12 ]
	v_addc_co_u32_e32 v67, vcc, v5, v9, vcc
.Ltmp123:
	.loc	1 192 10                        ; attention_aot.py:192:10
	v_ashrrev_i32_e32 v5, 31, v4
.Ltmp124:
	.loc	1 50 33                         ; attention_aot.py:50:33 @[ attention_aot.py:258:12 ]
	v_lshlrev_b64 v[4:5], 1, v[4:5]
.Ltmp125:
	.loc	1 192 24                        ; attention_aot.py:192:24
	v_or_b32_e32 v1, 8, v1
.Ltmp126:
	.loc	1 50 33                         ; attention_aot.py:50:33 @[ attention_aot.py:258:12 ]
	v_add_co_u32_e32 v68, vcc, v4, v8
.Ltmp127:
	.loc	1 192 35                        ; attention_aot.py:192:35
	v_mul_lo_u32 v4, s3, v1
.Ltmp128:
	.loc	1 50 33                         ; attention_aot.py:50:33 @[ attention_aot.py:258:12 ]
	v_addc_co_u32_e32 v69, vcc, v5, v9, vcc
.Ltmp129:
	.loc	1 192 10                        ; attention_aot.py:192:10
	v_ashrrev_i32_e32 v5, 31, v4
.Ltmp130:
	.loc	1 50 33                         ; attention_aot.py:50:33 @[ attention_aot.py:258:12 ]
	v_lshlrev_b64 v[4:5], 1, v[4:5]
	v_add_co_u32_e32 v4, vcc, v4, v8
.Ltmp131:
	.loc	1 192 10                        ; attention_aot.py:192:10
	v_ashrrev_i32_e32 v3, 31, v2
	.loc	1 230 20                        ; attention_aot.py:230:20
	v_lshlrev_b32_e32 v1, 3, v0
.Ltmp132:
	.loc	1 50 33                         ; attention_aot.py:50:33 @[ attention_aot.py:258:12 ]
	v_addc_co_u32_e32 v5, vcc, v5, v9, vcc
	v_lshlrev_b64 v[2:3], 1, v[2:3]
.Ltmp133:
	.loc	1 230 20                        ; attention_aot.py:230:20
	v_and_b32_e32 v1, 0x78, v1
.Ltmp134:
	.loc	1 50 33                         ; attention_aot.py:50:33 @[ attention_aot.py:258:12 ]
	v_add_co_u32_e32 v2, vcc, v8, v2
.Ltmp135:
	.loc	1 230 20                        ; attention_aot.py:230:20
	v_lshl_or_b32 v1, v188, 7, v1
	v_lshrrev_b32_e32 v8, 2, v35
	v_xor_b32_e32 v1, v1, v8
.Ltmp136:
	.loc	1 50 33                         ; attention_aot.py:50:33 @[ attention_aot.py:258:12 ]
	v_addc_co_u32_e32 v3, vcc, v9, v3, vcc
	v_add_u32_e32 v8, 0, v183
	v_lshlrev_b32_e32 v9, 1, v185
	v_lshlrev_b32_e32 v70, 5, v35
.Ltmp137:
	.loc	1 230 20                        ; attention_aot.py:230:20
	v_lshl_or_b32 v1, v185, 8, v1
	v_add3_u32 v190, v8, v70, v9
	v_xor_b32_e32 v8, 0x50, v1
	v_add_u32_e32 v70, 0, v8
	v_xor_b32_e32 v8, 0x60, v1
	v_add_u32_e32 v71, 0, v1
	v_xad_u32 v72, v1, 16, 0
	v_xad_u32 v73, v1, 32, 0
	;; [unrolled: 1-line block ×4, first 2 shown]
	v_xor_b32_e32 v1, 0x70, v1
	v_add_u32_e32 v78, 0, v1
.Ltmp138:
	.loc	1 83 29                         ; attention_aot.py:83:29 @[ attention_aot.py:258:12 ]
	v_mov_b32_e32 v1, 0x3fb8aa3b
	v_mul_f32_e32 v191, s14, v1
	v_lshlrev_b32_e32 v1, 4, v35
	v_add3_u32 v192, 0, v1, v9
	v_lshlrev_b32_e32 v0, 2, v0
	v_xor_b32_e32 v193, 0x80, v0
	v_add_u32_e32 v194, v192, v1
	.loc	1 50 33                         ; attention_aot.py:50:33 @[ attention_aot.py:258:12 ]
	v_mov_b32_e32 v1, s11
	v_add_co_u32_e32 v0, vcc, s10, v46
	v_addc_co_u32_e32 v1, vcc, v1, v47, vcc
.Ltmp139:
	.loc	1 230 20                        ; attention_aot.py:230:20
	v_add_u32_e32 v74, 0, v8
.Ltmp140:
	.loc	1 50 33                         ; attention_aot.py:50:33 @[ attention_aot.py:258:12 ]
	v_mov_b32_e32 v8, s11
	v_add_co_u32_e32 v82, vcc, s10, v44
	v_addc_co_u32_e32 v83, vcc, v8, v45, vcc
	v_add_co_u32_e32 v84, vcc, s10, v42
	v_addc_co_u32_e32 v85, vcc, v8, v43, vcc
	;; [unrolled: 2-line block ×15, first 2 shown]
	v_mov_b32_e32 v8, s9
	v_add_co_u32_e32 v112, vcc, s8, v14
	v_addc_co_u32_e32 v113, vcc, v8, v15, vcc
	v_add_co_u32_e32 v114, vcc, s8, v12
	v_addc_co_u32_e32 v115, vcc, v8, v13, vcc
	;; [unrolled: 2-line block ×4, first 2 shown]
	v_mov_b32_e32 v6, s9
	v_add_co_u32_e32 v120, vcc, s8, v50
	v_addc_co_u32_e32 v121, vcc, v6, v51, vcc
	v_add_co_u32_e32 v122, vcc, s8, v52
	v_addc_co_u32_e32 v123, vcc, v6, v53, vcc
	;; [unrolled: 2-line block ×10, first 2 shown]
.Ltmp141:
	.loc	1 230 20                        ; attention_aot.py:230:20
	ds_read2_b64 v[50:53], v71 offset1:16
	ds_read2_b64 v[54:57], v72 offset1:16
	;; [unrolled: 1-line block ×8, first 2 shown]
	.loc	1 163 28                        ; attention_aot.py:163:28
	s_ashr_i32 s3, s17, 31
	s_lshr_b32 s3, s3, 30
	s_add_i32 s3, s17, s3
	s_ashr_i32 s3, s3, 2
	.loc	1 172 32                        ; attention_aot.py:172:32
	s_mul_hi_i32 s7, s33, s0
	s_mul_i32 s0, s33, s0
	.loc	1 172 75 is_stmt 0              ; attention_aot.py:172:75
	s_mul_hi_i32 s12, s3, s1
	s_mul_i32 s3, s3, s1
.Ltmp142:
	.loc	1 50 33 is_stmt 1               ; attention_aot.py:50:33 @[ attention_aot.py:258:12 ]
	v_add_co_u32_e32 v140, vcc, s8, v4
.Ltmp143:
	.loc	1 172 49                        ; attention_aot.py:172:49
	s_add_u32 s0, s3, s0
.Ltmp144:
	.loc	1 50 33                         ; attention_aot.py:50:33 @[ attention_aot.py:258:12 ]
	v_addc_co_u32_e32 v141, vcc, v6, v5, vcc
.Ltmp145:
	.loc	1 172 49                        ; attention_aot.py:172:49
	s_addc_u32 s1, s12, s7
.Ltmp146:
	.loc	1 109 33                        ; attention_aot.py:109:33 @[ attention_aot.py:258:12 ]
	s_lshl_b32 s6, s6, 6
	.loc	1 108 33                        ; attention_aot.py:108:33 @[ attention_aot.py:258:12 ]
	s_lshl_b32 s2, s2, 6
	.loc	1 50 33                         ; attention_aot.py:50:33 @[ attention_aot.py:258:12 ]
	v_mov_b32_e32 v4, s9
	v_add_co_u32_e32 v142, vcc, s8, v2
	v_or_b32_e32 v2, 0x400, v34
	s_ashr_i32 s3, s2, 31
	s_ashr_i32 s7, s6, 31
	v_addc_co_u32_e32 v143, vcc, v4, v3, vcc
	v_or_b32_e32 v3, 0xc00, v34
	v_or_b32_e32 v4, 0x1400, v34
	;; [unrolled: 1-line block ×7, first 2 shown]
	v_add_u32_e32 v196, 0, v2
	v_lshrrev_b32_e32 v2, 1, v184
	v_mov_b32_e32 v32, 0
.Ltmp147:
	.loc	1 230 20                        ; attention_aot.py:230:20
	s_mov_b32 s81, 0
.Ltmp148:
	.loc	1 50 33                         ; attention_aot.py:50:33 @[ attention_aot.py:258:12 ]
	s_lshl_b64 s[72:73], s[0:1], 1
	s_lshl_b64 s[74:75], s[6:7], 1
	;; [unrolled: 1-line block ×3, first 2 shown]
	v_add_u32_e32 v195, 0, v34
	v_add_u32_e32 v197, 0, v3
	v_add_u32_e32 v198, 0, v4
	v_add_u32_e32 v199, 0, v5
	v_add_u32_e32 v200, 0, v6
	v_add_u32_e32 v201, 0, v7
	v_add_u32_e32 v202, 0, v8
	v_add_u32_e32 v203, 0, v9
	s_mov_b32 s82, 0x5040100
	v_add_u32_e32 v204, v194, v2
	v_mov_b32_e32 v33, v32
	v_mov_b32_e32 v30, v32
	;; [unrolled: 1-line block ×31, first 2 shown]
	v_add_u32_e32 v205, 0, v186
	v_mov_b32_e32 v217, 0xff800000
	v_mov_b32_e32 v207, 1.0
	v_mov_b32_e32 v206, 0xff800000
	s_branch .LBB0_70
.LBB0_69:                               ;   in Loop: Header=BB0_70 Depth=1
	.loc	1 0 33 is_stmt 0                ; attention_aot.py:0:33
	s_or_b64 exec, exec, s[0:1]
	.loc	1 54 22 is_stmt 1               ; attention_aot.py:54:22 @[ attention_aot.py:258:12 ]
	s_waitcnt lgkmcnt(0)
	s_barrier
	s_waitcnt vmcnt(0)
	ds_write_b16 v195, v34
	ds_write_b16 v196, v36
	ds_write_b16 v195, v35 offset:2048
	.loc	1 51 34                         ; attention_aot.py:51:34 @[ attention_aot.py:258:12 ]
	v_add_u32_e32 v34, s81, v182
	.loc	1 54 22                         ; attention_aot.py:54:22 @[ attention_aot.py:258:12 ]
	ds_write_b16 v197, v38
	ds_write_b16 v195, v37 offset:4096
	ds_write_b16 v198, v40
	.loc	1 51 34                         ; attention_aot.py:51:34 @[ attention_aot.py:258:12 ]
	v_add_u32_e32 v37, 3, v34
	.loc	1 54 22                         ; attention_aot.py:54:22 @[ attention_aot.py:258:12 ]
	ds_write_b16 v195, v39 offset:6144
	.loc	1 51 34                         ; attention_aot.py:51:34 @[ attention_aot.py:258:12 ]
	v_add_u32_e32 v38, 8, v34
	v_add_u32_e32 v39, 9, v34
	;; [unrolled: 1-line block ×3, first 2 shown]
	.loc	1 54 22                         ; attention_aot.py:54:22 @[ attention_aot.py:258:12 ]
	ds_write_b16 v199, v42
	ds_write_b16 v195, v41 offset:8192
	ds_write_b16 v200, v44
	ds_write_b16 v195, v43 offset:10240
	ds_write_b16 v201, v46
	ds_write_b16 v195, v45 offset:12288
	ds_write_b16 v202, v48
	ds_write_b16 v195, v47 offset:14336
	ds_write_b16 v203, v49
	s_waitcnt lgkmcnt(0)
	s_barrier
	.loc	1 51 44                         ; attention_aot.py:51:44 @[ attention_aot.py:258:12 ]
	v_cmp_gt_i32_e64 s[38:39], s80, v37
	.loc	1 54 22                         ; attention_aot.py:54:22 @[ attention_aot.py:258:12 ]
	ds_read_u16 v37, v192
	.loc	1 51 44                         ; attention_aot.py:51:44 @[ attention_aot.py:258:12 ]
	v_cmp_gt_i32_e64 s[40:41], s80, v38
	.loc	1 54 22                         ; attention_aot.py:54:22 @[ attention_aot.py:258:12 ]
	ds_read_u16 v38, v192 offset:128
	.loc	1 51 44                         ; attention_aot.py:51:44 @[ attention_aot.py:258:12 ]
	v_cmp_gt_i32_e64 s[42:43], s80, v39
	.loc	1 54 22                         ; attention_aot.py:54:22 @[ attention_aot.py:258:12 ]
	ds_read_u16 v39, v192 offset:256
	;; [unrolled: 4-line block ×3, first 2 shown]
	.loc	1 51 34                         ; attention_aot.py:51:34 @[ attention_aot.py:258:12 ]
	v_add_u32_e32 v35, 1, v34
	.loc	1 51 44 is_stmt 0               ; attention_aot.py:51:44 @[ attention_aot.py:258:12 ]
	v_cmp_gt_i32_e64 s[34:35], s80, v35
	.loc	1 51 34                         ; attention_aot.py:51:34 @[ attention_aot.py:258:12 ]
	v_add_u32_e32 v35, 26, v34
	.loc	1 51 44                         ; attention_aot.py:51:44 @[ attention_aot.py:258:12 ]
	v_cmp_gt_i32_e64 s[60:61], s80, v35
	.loc	1 54 22 is_stmt 1               ; attention_aot.py:54:22 @[ attention_aot.py:258:12 ]
	ds_read_u16 v35, v192 offset:2432
	.loc	1 58 27                         ; attention_aot.py:58:27 @[ attention_aot.py:258:12 ]
	s_waitcnt lgkmcnt(1)
	v_perm_b32 v177, v40, v39, s82
	.loc	1 54 22                         ; attention_aot.py:54:22 @[ attention_aot.py:258:12 ]
	ds_read_u16 v39, v192 offset:1024
	ds_read_u16 v40, v192 offset:1152
	.loc	1 51 34                         ; attention_aot.py:51:34 @[ attention_aot.py:258:12 ]
	v_add_u32_e32 v36, 2, v34
	.loc	1 51 44 is_stmt 0               ; attention_aot.py:51:44 @[ attention_aot.py:258:12 ]
	v_cmp_gt_i32_e64 s[36:37], s80, v36
	.loc	1 51 34                         ; attention_aot.py:51:34 @[ attention_aot.py:258:12 ]
	v_add_u32_e32 v36, 27, v34
	.loc	1 58 27 is_stmt 1               ; attention_aot.py:58:27 @[ attention_aot.py:258:12 ]
	v_perm_b32 v176, v38, v37, s82
	.loc	1 54 22                         ; attention_aot.py:54:22 @[ attention_aot.py:258:12 ]
	ds_read_u16 v37, v192 offset:448
	.loc	1 58 27                         ; attention_aot.py:58:27 @[ attention_aot.py:258:12 ]
	s_waitcnt lgkmcnt(1)
	v_perm_b32 v178, v40, v39, s82
	.loc	1 54 22                         ; attention_aot.py:54:22 @[ attention_aot.py:258:12 ]
	ds_read_u16 v39, v192 offset:1472
	.loc	1 51 44                         ; attention_aot.py:51:44 @[ attention_aot.py:258:12 ]
	v_cmp_gt_i32_e64 s[62:63], s80, v36
	.loc	1 54 22                         ; attention_aot.py:54:22 @[ attention_aot.py:258:12 ]
	ds_read_u16 v36, v192 offset:2496
	ds_read_u16 v40, v192 offset:1344
	ds_read_u16 v38, v192 offset:320
	.loc	1 51 34                         ; attention_aot.py:51:34 @[ attention_aot.py:258:12 ]
	v_add_u32_e32 v41, 11, v34
	v_add_u32_e32 v42, 16, v34
	;; [unrolled: 1-line block ×3, first 2 shown]
	.loc	1 58 27                         ; attention_aot.py:58:27 @[ attention_aot.py:258:12 ]
	s_waitcnt lgkmcnt(1)
	v_perm_b32 v147, v39, v40, s82
	s_waitcnt lgkmcnt(0)
	v_perm_b32 v145, v37, v38, s82
	.loc	1 54 22                         ; attention_aot.py:54:22 @[ attention_aot.py:258:12 ]
	ds_read_u16 v37, v192 offset:1280
	ds_read_u16 v38, v192 offset:1408
	;; [unrolled: 1-line block ×3, first 2 shown]
	.loc	1 51 34                         ; attention_aot.py:51:34 @[ attention_aot.py:258:12 ]
	v_add_u32_e32 v44, 18, v34
	v_add_u32_e32 v45, 19, v34
	;; [unrolled: 1-line block ×3, first 2 shown]
	.loc	1 58 27                         ; attention_aot.py:58:27 @[ attention_aot.py:258:12 ]
	s_waitcnt lgkmcnt(1)
	v_perm_b32 v179, v38, v37, s82
	.loc	1 54 22                         ; attention_aot.py:54:22 @[ attention_aot.py:258:12 ]
	ds_read_u16 v37, v192 offset:2048
	ds_read_u16 v38, v192 offset:2176
	.loc	1 58 27                         ; attention_aot.py:58:27 @[ attention_aot.py:258:12 ]
	s_waitcnt lgkmcnt(2)
	v_perm_b32 v229, v35, v39, s82
	.loc	1 51 34                         ; attention_aot.py:51:34 @[ attention_aot.py:258:12 ]
	v_add_u32_e32 v47, 25, v34
	.loc	1 51 44 is_stmt 0               ; attention_aot.py:51:44 @[ attention_aot.py:258:12 ]
	v_cmp_gt_i32_e64 s[64:65], s80, v34
	v_cmp_gt_i32_e64 s[46:47], s80, v41
	.loc	1 58 27 is_stmt 1               ; attention_aot.py:58:27 @[ attention_aot.py:258:12 ]
	s_waitcnt lgkmcnt(0)
	v_perm_b32 v228, v38, v37, s82
	.loc	1 54 22                         ; attention_aot.py:54:22 @[ attention_aot.py:258:12 ]
	ds_read_u16 v35, v192 offset:2368
	ds_read_u16 v37, v192 offset:3072
	.loc	1 51 44                         ; attention_aot.py:51:44 @[ attention_aot.py:258:12 ]
	v_cmp_gt_i32_e64 s[48:49], s80, v42
	v_cmp_gt_i32_e64 s[50:51], s80, v43
	v_cmp_gt_i32_e64 s[52:53], s80, v44
	.loc	1 58 27                         ; attention_aot.py:58:27 @[ attention_aot.py:258:12 ]
	s_waitcnt lgkmcnt(1)
	v_perm_b32 v149, v36, v35, s82
	.loc	1 54 22                         ; attention_aot.py:54:22 @[ attention_aot.py:258:12 ]
	ds_read_u16 v35, v192 offset:3200
	.loc	1 51 44                         ; attention_aot.py:51:44 @[ attention_aot.py:258:12 ]
	v_cmp_gt_i32_e64 s[54:55], s80, v45
	v_cmp_gt_i32_e64 s[56:57], s80, v46
	v_cmp_gt_i32_e64 s[58:59], s80, v47
	.loc	1 95 20                         ; attention_aot.py:95:20 @[ attention_aot.py:258:12 ]
	v_add_u32_e32 v227, v205, v187
	.loc	1 58 27                         ; attention_aot.py:58:27 @[ attention_aot.py:258:12 ]
	s_waitcnt lgkmcnt(0)
	v_perm_b32 v230, v35, v37, s82
	.loc	1 54 22                         ; attention_aot.py:54:22 @[ attention_aot.py:258:12 ]
	ds_read_u16 v35, v192 offset:3328
	ds_read_u16 v36, v192 offset:3456
	.loc	1 95 20                         ; attention_aot.py:95:20 @[ attention_aot.py:258:12 ]
	v_add_u32_e32 v226, v205, v184
	.loc	1 102 21                        ; attention_aot.py:102:21 @[ attention_aot.py:258:12 ]
	v_add_u32_e32 v225, v194, v188
	.loc	1 50 33                         ; attention_aot.py:50:33 @[ attention_aot.py:258:12 ]
	s_add_i32 s81, s81, 64
	s_cmp_lt_i32 s81, s80
	.loc	1 58 27                         ; attention_aot.py:58:27 @[ attention_aot.py:258:12 ]
	s_waitcnt lgkmcnt(0)
	v_perm_b32 v231, v36, v35, s82
	.loc	1 54 22                         ; attention_aot.py:54:22 @[ attention_aot.py:258:12 ]
	ds_read_u16 v35, v192 offset:3520
	ds_read_u16 v36, v192 offset:3392
	.loc	1 58 27                         ; attention_aot.py:58:27 @[ attention_aot.py:258:12 ]
	s_waitcnt lgkmcnt(0)
	v_perm_b32 v151, v35, v36, s82
	.loc	1 54 22                         ; attention_aot.py:54:22 @[ attention_aot.py:258:12 ]
	ds_read_u16 v35, v192 offset:4096
	ds_read_u16 v36, v192 offset:4224
	;; [unrolled: 6-line block ×53, first 2 shown]
	.loc	1 95 20                         ; attention_aot.py:95:20 @[ attention_aot.py:258:12 ]
	s_waitcnt lgkmcnt(0)
	s_barrier
	.loc	1 58 27                         ; attention_aot.py:58:27 @[ attention_aot.py:258:12 ]
	v_perm_b32 v170, v35, v36, s82
	.loc	1 51 34                         ; attention_aot.py:51:34 @[ attention_aot.py:258:12 ]
	v_add_u32_e32 v35, 33, v34
	.loc	1 51 44 is_stmt 0               ; attention_aot.py:51:44 @[ attention_aot.py:258:12 ]
	v_cmp_gt_i32_e32 vcc, s80, v35
	.loc	1 51 34                         ; attention_aot.py:51:34 @[ attention_aot.py:258:12 ]
	v_add_u32_e32 v35, 34, v34
	.loc	1 51 44                         ; attention_aot.py:51:44 @[ attention_aot.py:258:12 ]
	v_cmp_gt_i32_e64 s[0:1], s80, v35
	.loc	1 51 34                         ; attention_aot.py:51:34 @[ attention_aot.py:258:12 ]
	v_add_u32_e32 v35, 35, v34
	.loc	1 51 44                         ; attention_aot.py:51:44 @[ attention_aot.py:258:12 ]
	v_cmp_gt_i32_e64 s[2:3], s80, v35
	;; [unrolled: 4-line block ×13, first 2 shown]
	.loc	1 51 34                         ; attention_aot.py:51:34 @[ attention_aot.py:258:12 ]
	v_add_u32_e32 v35, 59, v34
	v_add_u32_e32 v34, 32, v34
	.loc	1 51 44                         ; attention_aot.py:51:44 @[ attention_aot.py:258:12 ]
	v_cmp_gt_i32_e64 s[28:29], s80, v35
	v_cmp_gt_i32_e64 s[30:31], s80, v34
	.loc	1 58 27 is_stmt 1               ; attention_aot.py:58:27 @[ attention_aot.py:258:12 ]
	v_mfma_f32_32x32x8f16 v[34:49], v[176:177], v[50:51], 0
	v_mfma_f32_32x32x8f16 v[34:49], v[178:179], v[54:55], v[34:49]
	;; [unrolled: 1-line block ×16, first 2 shown]
	.loc	1 60 49                         ; attention_aot.py:60:49 @[ attention_aot.py:258:12 ]
	s_nop 15
	s_nop 2
	v_cndmask_b32_e64 v239, v206, v34, s[64:65]
	v_cndmask_b32_e64 v238, v206, v35, s[34:35]
	;; [unrolled: 1-line block ×4, first 2 shown]
	.loc	1 83 18                         ; attention_aot.py:83:18 @[ attention_aot.py:258:12 ]
	v_mul_f32_e32 v34, v191, v239
	v_mul_f32_e32 v35, v191, v238
	.loc	1 60 49                         ; attention_aot.py:60:49 @[ attention_aot.py:258:12 ]
	v_cndmask_b32_e64 v235, v206, v38, s[40:41]
	v_cndmask_b32_e64 v234, v206, v39, s[42:43]
.Ltmp149:
	.file	2 "/root/.local/lib/python3.13/site-packages/triton/language" "standard.py"
	.loc	2 170 27                        ; standard.py:170:27 @[ standard.py:191:40 @[ attention_aot.py:86:46 @[ attention_aot.py:258:12 ] ] ]
	v_max_f32_e32 v34, v34, v35
.Ltmp150:
	.loc	1 83 18                         ; attention_aot.py:83:18 @[ attention_aot.py:258:12 ]
	v_mul_f32_e32 v35, v191, v237
	v_mul_f32_e32 v36, v191, v236
	.loc	1 60 49                         ; attention_aot.py:60:49 @[ attention_aot.py:258:12 ]
	v_cndmask_b32_e64 v233, v206, v40, s[44:45]
	v_cndmask_b32_e64 v176, v206, v41, s[46:47]
.Ltmp151:
	.loc	2 170 27                        ; standard.py:170:27 @[ standard.py:191:40 @[ attention_aot.py:86:46 @[ attention_aot.py:258:12 ] ] ]
	v_max3_f32 v34, v34, v35, v36
.Ltmp152:
	.loc	1 83 18                         ; attention_aot.py:83:18 @[ attention_aot.py:258:12 ]
	v_mul_f32_e32 v35, v191, v235
	v_mul_f32_e32 v36, v191, v234
	.loc	1 60 49                         ; attention_aot.py:60:49 @[ attention_aot.py:258:12 ]
	v_cndmask_b32_e64 v177, v206, v42, s[48:49]
	v_cndmask_b32_e64 v232, v206, v43, s[50:51]
.Ltmp153:
	.loc	2 170 27                        ; standard.py:170:27 @[ standard.py:191:40 @[ attention_aot.py:86:46 @[ attention_aot.py:258:12 ] ] ]
	v_max3_f32 v34, v34, v35, v36
.Ltmp154:
	.loc	1 83 18                         ; attention_aot.py:83:18 @[ attention_aot.py:258:12 ]
	v_mul_f32_e32 v35, v191, v233
	v_mul_f32_e32 v36, v191, v176
	.loc	1 60 49                         ; attention_aot.py:60:49 @[ attention_aot.py:258:12 ]
	v_cndmask_b32_e64 v231, v206, v44, s[52:53]
	v_cndmask_b32_e64 v230, v206, v45, s[54:55]
.Ltmp155:
	.loc	2 170 27                        ; standard.py:170:27 @[ standard.py:191:40 @[ attention_aot.py:86:46 @[ attention_aot.py:258:12 ] ] ]
	v_max3_f32 v34, v34, v35, v36
.Ltmp156:
	.loc	1 83 18                         ; attention_aot.py:83:18 @[ attention_aot.py:258:12 ]
	v_mul_f32_e32 v35, v191, v177
	v_mul_f32_e32 v36, v191, v232
	.loc	1 60 49                         ; attention_aot.py:60:49 @[ attention_aot.py:258:12 ]
	v_cndmask_b32_e64 v229, v206, v46, s[56:57]
	v_cndmask_b32_e64 v228, v206, v47, s[58:59]
.Ltmp157:
	.loc	2 170 27                        ; standard.py:170:27 @[ standard.py:191:40 @[ attention_aot.py:86:46 @[ attention_aot.py:258:12 ] ] ]
	v_max3_f32 v34, v34, v35, v36
.Ltmp158:
	.loc	1 83 18                         ; attention_aot.py:83:18 @[ attention_aot.py:258:12 ]
	v_mul_f32_e32 v35, v191, v231
	v_mul_f32_e32 v36, v191, v230
	.loc	1 60 49                         ; attention_aot.py:60:49 @[ attention_aot.py:258:12 ]
	v_cndmask_b32_e64 v179, v206, v48, s[60:61]
	v_cndmask_b32_e64 v178, v206, v49, s[62:63]
.Ltmp159:
	.loc	2 170 27                        ; standard.py:170:27 @[ standard.py:191:40 @[ attention_aot.py:86:46 @[ attention_aot.py:258:12 ] ] ]
	v_max3_f32 v34, v34, v35, v36
.Ltmp160:
	.loc	1 83 18                         ; attention_aot.py:83:18 @[ attention_aot.py:258:12 ]
	v_mul_f32_e32 v35, v191, v229
	v_mul_f32_e32 v36, v191, v228
.Ltmp161:
	.loc	2 170 27                        ; standard.py:170:27 @[ standard.py:191:40 @[ attention_aot.py:86:46 @[ attention_aot.py:258:12 ] ] ]
	v_max3_f32 v34, v34, v35, v36
.Ltmp162:
	.loc	1 83 18                         ; attention_aot.py:83:18 @[ attention_aot.py:258:12 ]
	v_mul_f32_e32 v35, v191, v179
	v_mul_f32_e32 v36, v191, v178
.Ltmp163:
	.loc	2 170 27                        ; standard.py:170:27 @[ standard.py:191:40 @[ attention_aot.py:86:46 @[ attention_aot.py:258:12 ] ] ]
	v_max3_f32 v240, v34, v35, v36
.Ltmp164:
	.loc	1 58 27                         ; attention_aot.py:58:27 @[ attention_aot.py:258:12 ]
	v_mfma_f32_32x32x8f16 v[34:49], v[144:145], v[50:51], 0
	v_mfma_f32_32x32x8f16 v[34:49], v[146:147], v[54:55], v[34:49]
	;; [unrolled: 1-line block ×16, first 2 shown]
	.loc	1 60 49                         ; attention_aot.py:60:49 @[ attention_aot.py:258:12 ]
	s_nop 15
	s_nop 2
	v_cndmask_b32_e64 v34, v206, v34, s[30:31]
	v_cndmask_b32_e32 v35, v206, v35, vcc
	v_cndmask_b32_e64 v36, v206, v36, s[0:1]
	v_cndmask_b32_e64 v37, v206, v37, s[2:3]
	.loc	1 83 18                         ; attention_aot.py:83:18 @[ attention_aot.py:258:12 ]
	v_mul_f32_e32 v144, v191, v34
	v_mul_f32_e32 v145, v191, v35
	.loc	1 60 49                         ; attention_aot.py:60:49 @[ attention_aot.py:258:12 ]
	v_cndmask_b32_e64 v38, v206, v38, s[6:7]
	v_cndmask_b32_e64 v39, v206, v39, s[8:9]
.Ltmp165:
	.loc	2 170 27                        ; standard.py:170:27 @[ standard.py:191:40 @[ attention_aot.py:86:46 @[ attention_aot.py:258:12 ] ] ]
	v_max3_f32 v144, v240, v144, v145
.Ltmp166:
	.loc	1 83 18                         ; attention_aot.py:83:18 @[ attention_aot.py:258:12 ]
	v_mul_f32_e32 v145, v191, v36
	v_mul_f32_e32 v146, v191, v37
	.loc	1 60 49                         ; attention_aot.py:60:49 @[ attention_aot.py:258:12 ]
	v_cndmask_b32_e64 v40, v206, v40, s[10:11]
	v_cndmask_b32_e64 v41, v206, v41, s[12:13]
.Ltmp167:
	.loc	2 170 27                        ; standard.py:170:27 @[ standard.py:191:40 @[ attention_aot.py:86:46 @[ attention_aot.py:258:12 ] ] ]
	v_max3_f32 v144, v144, v145, v146
.Ltmp168:
	.loc	1 83 18                         ; attention_aot.py:83:18 @[ attention_aot.py:258:12 ]
	v_mul_f32_e32 v145, v191, v38
	v_mul_f32_e32 v146, v191, v39
	.loc	1 60 49                         ; attention_aot.py:60:49 @[ attention_aot.py:258:12 ]
	v_cndmask_b32_e64 v42, v206, v42, s[14:15]
	v_cndmask_b32_e64 v43, v206, v43, s[66:67]
.Ltmp169:
	.loc	2 170 27                        ; standard.py:170:27 @[ standard.py:191:40 @[ attention_aot.py:86:46 @[ attention_aot.py:258:12 ] ] ]
	v_max3_f32 v144, v144, v145, v146
.Ltmp170:
	.loc	1 83 18                         ; attention_aot.py:83:18 @[ attention_aot.py:258:12 ]
	v_mul_f32_e32 v145, v191, v40
	v_mul_f32_e32 v146, v191, v41
	.loc	1 60 49                         ; attention_aot.py:60:49 @[ attention_aot.py:258:12 ]
	v_cndmask_b32_e64 v44, v206, v44, s[18:19]
	v_cndmask_b32_e64 v45, v206, v45, s[20:21]
.Ltmp171:
	.loc	2 170 27                        ; standard.py:170:27 @[ standard.py:191:40 @[ attention_aot.py:86:46 @[ attention_aot.py:258:12 ] ] ]
	v_max3_f32 v144, v144, v145, v146
.Ltmp172:
	.loc	1 83 18                         ; attention_aot.py:83:18 @[ attention_aot.py:258:12 ]
	v_mul_f32_e32 v145, v191, v42
	v_mul_f32_e32 v146, v191, v43
	.loc	1 60 49                         ; attention_aot.py:60:49 @[ attention_aot.py:258:12 ]
	v_cndmask_b32_e64 v46, v206, v46, s[22:23]
	v_cndmask_b32_e64 v47, v206, v47, s[24:25]
.Ltmp173:
	.loc	2 170 27                        ; standard.py:170:27 @[ standard.py:191:40 @[ attention_aot.py:86:46 @[ attention_aot.py:258:12 ] ] ]
	v_max3_f32 v144, v144, v145, v146
.Ltmp174:
	.loc	1 83 18                         ; attention_aot.py:83:18 @[ attention_aot.py:258:12 ]
	v_mul_f32_e32 v145, v191, v44
	v_mul_f32_e32 v146, v191, v45
	.loc	1 60 49                         ; attention_aot.py:60:49 @[ attention_aot.py:258:12 ]
	v_cndmask_b32_e64 v48, v206, v48, s[26:27]
	v_cndmask_b32_e64 v49, v206, v49, s[28:29]
.Ltmp175:
	.loc	2 170 27                        ; standard.py:170:27 @[ standard.py:191:40 @[ attention_aot.py:86:46 @[ attention_aot.py:258:12 ] ] ]
	v_max3_f32 v144, v144, v145, v146
.Ltmp176:
	.loc	1 83 18                         ; attention_aot.py:83:18 @[ attention_aot.py:258:12 ]
	v_mul_f32_e32 v145, v191, v46
	v_mul_f32_e32 v146, v191, v47
.Ltmp177:
	.loc	2 170 27                        ; standard.py:170:27 @[ standard.py:191:40 @[ attention_aot.py:86:46 @[ attention_aot.py:258:12 ] ] ]
	v_max3_f32 v144, v144, v145, v146
.Ltmp178:
	.loc	1 83 18                         ; attention_aot.py:83:18 @[ attention_aot.py:258:12 ]
	v_mul_f32_e32 v145, v191, v48
	v_mul_f32_e32 v146, v191, v49
.Ltmp179:
	.loc	2 170 27                        ; standard.py:170:27 @[ standard.py:191:40 @[ attention_aot.py:86:46 @[ attention_aot.py:258:12 ] ] ]
	v_max3_f32 v144, v144, v145, v146
.Ltmp180:
	.loc	2 191 40                        ; standard.py:191:40 @[ attention_aot.py:86:46 @[ attention_aot.py:258:12 ] ]
	ds_bpermute_b32 v145, v193, v144
.Ltmp181:
	.loc	1 50 33                         ; attention_aot.py:50:33 @[ attention_aot.py:258:12 ]
	v_add_co_u32_e32 v0, vcc, s74, v0
	.loc	1 86 35                         ; attention_aot.py:86:35 @[ attention_aot.py:258:12 ]
	s_waitcnt lgkmcnt(0)
	v_max3_f32 v144, v217, v144, v145
	.loc	1 87 22                         ; attention_aot.py:87:22 @[ attention_aot.py:258:12 ]
	v_fma_f32 v146, v191, v239, -v144
	.loc	1 89 25                         ; attention_aot.py:89:25 @[ attention_aot.py:258:12 ]
	v_exp_f32_e32 v169, v146
	.loc	1 87 22                         ; attention_aot.py:87:22 @[ attention_aot.py:258:12 ]
	v_fma_f32 v146, v191, v238, -v144
	.loc	1 89 25                         ; attention_aot.py:89:25 @[ attention_aot.py:258:12 ]
	v_exp_f32_e32 v170, v146
	;; [unrolled: 4-line block ×15, first 2 shown]
	.loc	1 87 22                         ; attention_aot.py:87:22 @[ attention_aot.py:258:12 ]
	v_fma_f32 v146, v191, v178, -v144
	v_fma_f32 v34, v191, v34, -v144
	.loc	1 89 25                         ; attention_aot.py:89:25 @[ attention_aot.py:258:12 ]
	v_exp_f32_e32 v162, v146
	v_exp_f32_e32 v146, v34
	.loc	1 87 22                         ; attention_aot.py:87:22 @[ attention_aot.py:258:12 ]
	v_fma_f32 v34, v191, v35, -v144
	.loc	1 89 25                         ; attention_aot.py:89:25 @[ attention_aot.py:258:12 ]
	v_exp_f32_e32 v147, v34
	.loc	1 87 22                         ; attention_aot.py:87:22 @[ attention_aot.py:258:12 ]
	v_fma_f32 v34, v191, v36, -v144
	.loc	1 89 25                         ; attention_aot.py:89:25 @[ attention_aot.py:258:12 ]
	;; [unrolled: 4-line block ×10, first 2 shown]
	v_sub_f32_e32 v145, v217, v144
	.loc	1 89 25                         ; attention_aot.py:89:25 @[ attention_aot.py:258:12 ]
	v_exp_f32_e32 v155, v34
	.loc	1 87 22                         ; attention_aot.py:87:22 @[ attention_aot.py:258:12 ]
	v_fma_f32 v34, v191, v45, -v144
	.loc	1 92 29                         ; attention_aot.py:92:29 @[ attention_aot.py:258:12 ]
	v_exp_f32_e32 v145, v145
	.loc	1 89 25                         ; attention_aot.py:89:25 @[ attention_aot.py:258:12 ]
	v_exp_f32_e32 v157, v34
	.loc	1 87 22                         ; attention_aot.py:87:22 @[ attention_aot.py:258:12 ]
	v_fma_f32 v34, v191, v46, -v144
	.loc	1 89 25                         ; attention_aot.py:89:25 @[ attention_aot.py:258:12 ]
	v_exp_f32_e32 v158, v34
	.loc	1 87 22                         ; attention_aot.py:87:22 @[ attention_aot.py:258:12 ]
	v_fma_f32 v34, v191, v47, -v144
	;; [unrolled: 4-line block ×4, first 2 shown]
	.loc	1 95 20                         ; attention_aot.py:95:20 @[ attention_aot.py:258:12 ]
	ds_write_b32 v227, v145
	s_waitcnt lgkmcnt(0)
	s_barrier
	.loc	1 89 25                         ; attention_aot.py:89:25 @[ attention_aot.py:258:12 ]
	v_exp_f32_e32 v161, v34
	.loc	1 95 20                         ; attention_aot.py:95:20 @[ attention_aot.py:258:12 ]
	ds_read_b32 v34, v226
	.loc	1 102 21                        ; attention_aot.py:102:21 @[ attention_aot.py:258:12 ]
	s_waitcnt lgkmcnt(0)
	s_barrier
	v_mov_b32_e32 v217, v144
	.loc	1 104 31                        ; attention_aot.py:104:31 @[ attention_aot.py:258:12 ]
	v_pk_mul_f32 v[32:33], v[32:33], v[34:35] op_sel_hi:[1,0]
	v_pk_mul_f32 v[30:31], v[30:31], v[34:35] op_sel_hi:[1,0]
	;; [unrolled: 1-line block ×16, first 2 shown]
	.loc	1 102 21                        ; attention_aot.py:102:21 @[ attention_aot.py:258:12 ]
	v_cvt_f16_f32_e32 v34, v169
	ds_write_b16 v225, v34
	v_cvt_f16_f32_e32 v34, v170
	ds_write_b16 v225, v34 offset:256
	v_cvt_f16_f32_e32 v34, v171
	ds_write_b16 v225, v34 offset:512
	v_cvt_f16_f32_e32 v34, v172
	ds_write_b16 v225, v34 offset:768
	v_cvt_f16_f32_e32 v34, v173
	ds_write_b16 v225, v34 offset:2048
	v_cvt_f16_f32_e32 v34, v174
	ds_write_b16 v225, v34 offset:2304
	v_cvt_f16_f32_e32 v34, v175
	ds_write_b16 v225, v34 offset:2560
	v_cvt_f16_f32_e32 v34, v176
	ds_write_b16 v225, v34 offset:2816
	v_cvt_f16_f32_e32 v34, v177
	ds_write_b16 v225, v34 offset:4096
	v_cvt_f16_f32_e32 v34, v168
	ds_write_b16 v225, v34 offset:4352
	v_cvt_f16_f32_e32 v34, v167
	ds_write_b16 v225, v34 offset:4608
	v_cvt_f16_f32_e32 v34, v166
	ds_write_b16 v225, v34 offset:4864
	v_cvt_f16_f32_e32 v34, v165
	ds_write_b16 v225, v34 offset:6144
	v_cvt_f16_f32_e32 v34, v164
	ds_write_b16 v225, v34 offset:6400
	v_cvt_f16_f32_e32 v34, v163
	ds_write_b16 v225, v34 offset:6656
	v_cvt_f16_f32_e32 v34, v162
	ds_write_b16 v225, v34 offset:6912
	v_cvt_f16_f32_e32 v34, v146
	ds_write_b16 v225, v34 offset:8192
	v_cvt_f16_f32_e32 v34, v147
	ds_write_b16 v225, v34 offset:8448
	v_cvt_f16_f32_e32 v34, v148
	ds_write_b16 v225, v34 offset:8704
	v_cvt_f16_f32_e32 v34, v149
	ds_write_b16 v225, v34 offset:8960
	v_cvt_f16_f32_e32 v34, v150
	ds_write_b16 v225, v34 offset:10240
	v_cvt_f16_f32_e32 v34, v152
	ds_write_b16 v225, v34 offset:10496
	v_cvt_f16_f32_e32 v34, v151
	ds_write_b16 v225, v34 offset:10752
	v_cvt_f16_f32_e32 v34, v153
	ds_write_b16 v225, v34 offset:11008
	v_cvt_f16_f32_e32 v34, v154
	ds_write_b16 v225, v34 offset:12288
	v_cvt_f16_f32_e32 v34, v156
	ds_write_b16 v225, v34 offset:12544
	v_cvt_f16_f32_e32 v34, v155
	ds_write_b16 v225, v34 offset:12800
	v_cvt_f16_f32_e32 v34, v157
	ds_write_b16 v225, v34 offset:13056
	v_cvt_f16_f32_e32 v34, v158
	ds_write_b16 v225, v34 offset:14336
	v_cvt_f16_f32_e32 v34, v159
	ds_write_b16 v225, v34 offset:14592
	v_cvt_f16_f32_e32 v34, v160
	ds_write_b16 v225, v34 offset:14848
	v_cvt_f16_f32_e32 v34, v161
	ds_write_b16 v225, v34 offset:15104
	s_waitcnt lgkmcnt(0)
	s_barrier
	ds_read_u16 v34, v204 offset:512
	ds_read_u16 v35, v204 offset:768
	.loc	1 104 31                        ; attention_aot.py:104:31 @[ attention_aot.py:258:12 ]
	s_waitcnt lgkmcnt(0)
	v_perm_b32 v41, v35, v34, s82
	.loc	1 102 21                        ; attention_aot.py:102:21 @[ attention_aot.py:258:12 ]
	ds_read_u16 v34, v204 offset:2048
	ds_read_u16 v35, v204 offset:2304
	.loc	1 104 31                        ; attention_aot.py:104:31 @[ attention_aot.py:258:12 ]
	s_waitcnt lgkmcnt(0)
	v_perm_b32 v38, v35, v34, s82
	.loc	1 102 21                        ; attention_aot.py:102:21 @[ attention_aot.py:258:12 ]
	;; [unrolled: 6-line block ×3, first 2 shown]
	ds_read_u16 v34, v204
	ds_read_u16 v35, v204 offset:256
	.loc	1 104 31                        ; attention_aot.py:104:31 @[ attention_aot.py:258:12 ]
	s_waitcnt lgkmcnt(0)
	v_perm_b32 v40, v35, v34, s82
	.loc	1 102 21                        ; attention_aot.py:102:21 @[ attention_aot.py:258:12 ]
	ds_read_u16 v34, v204 offset:4096
	ds_read_u16 v35, v204 offset:4352
	.loc	1 104 31                        ; attention_aot.py:104:31 @[ attention_aot.py:258:12 ]
	s_waitcnt lgkmcnt(0)
	v_perm_b32 v48, v35, v34, s82
	.loc	1 102 21                        ; attention_aot.py:102:21 @[ attention_aot.py:258:12 ]
	ds_read_u16 v34, v204 offset:4608
	;; [unrolled: 6-line block ×12, first 2 shown]
	ds_read_u16 v178, v204 offset:15104
	.loc	1 56 28                         ; attention_aot.py:56:28 @[ attention_aot.py:258:12 ]
	s_waitcnt lgkmcnt(0)
	s_barrier
	ds_write_b16 v195, v208
	ds_write_b16 v196, v210
	ds_write_b16 v195, v209 offset:2048
	ds_write_b16 v197, v212
	ds_write_b16 v195, v211 offset:4096
	;; [unrolled: 2-line block ×7, first 2 shown]
	ds_write_b16 v203, v224
	s_waitcnt lgkmcnt(0)
	.loc	1 104 31                        ; attention_aot.py:104:31 @[ attention_aot.py:258:12 ]
	v_perm_b32 v35, v178, v35, s82
	.loc	1 56 28                         ; attention_aot.py:56:28 @[ attention_aot.py:258:12 ]
	s_barrier
	ds_read_u16 v178, v190 offset:512
	ds_read_u16 v179, v190 offset:768
	.loc	1 104 31                        ; attention_aot.py:104:31 @[ attention_aot.py:258:12 ]
	s_waitcnt lgkmcnt(0)
	v_perm_b32 v179, v179, v178, s82
	.loc	1 56 28                         ; attention_aot.py:56:28 @[ attention_aot.py:258:12 ]
	ds_read_u16 v178, v190 offset:896
	ds_read_u16 v208, v190 offset:640
	.loc	1 104 31                        ; attention_aot.py:104:31 @[ attention_aot.py:258:12 ]
	s_waitcnt lgkmcnt(0)
	v_perm_b32 v209, v178, v208, s82
	.loc	1 56 28                         ; attention_aot.py:56:28 @[ attention_aot.py:258:12 ]
	ds_read_u16 v208, v190 offset:384
	ds_read_u16 v178, v190 offset:256
	ds_read_u16 v210, v190
	.loc	1 104 31                        ; attention_aot.py:104:31 @[ attention_aot.py:258:12 ]
	s_waitcnt lgkmcnt(0)
	v_perm_b32 v178, v178, v210, s82
	s_nop 1
	v_mfma_f32_32x32x8f16 v[18:33], v[178:179], v[40:41], v[18:33]
	.loc	1 56 28                         ; attention_aot.py:56:28 @[ attention_aot.py:258:12 ]
	ds_read_u16 v178, v190 offset:128
	.loc	1 104 31                        ; attention_aot.py:104:31 @[ attention_aot.py:258:12 ]
	s_waitcnt lgkmcnt(0)
	v_perm_b32 v208, v208, v178, s82
	s_nop 1
	v_mfma_f32_32x32x8f16 v[2:17], v[208:209], v[40:41], v[2:17]
	.loc	1 56 28                         ; attention_aot.py:56:28 @[ attention_aot.py:258:12 ]
	ds_read_u16 v40, v190 offset:2560
	ds_read_u16 v41, v190 offset:2816
	.loc	1 104 31                        ; attention_aot.py:104:31 @[ attention_aot.py:258:12 ]
	s_waitcnt lgkmcnt(0)
	v_perm_b32 v41, v41, v40, s82
	.loc	1 56 28                         ; attention_aot.py:56:28 @[ attention_aot.py:258:12 ]
	ds_read_u16 v40, v190 offset:2944
	ds_read_u16 v178, v190 offset:2688
	.loc	1 104 31                        ; attention_aot.py:104:31 @[ attention_aot.py:258:12 ]
	s_waitcnt lgkmcnt(0)
	v_perm_b32 v179, v40, v178, s82
	.loc	1 56 28                         ; attention_aot.py:56:28 @[ attention_aot.py:258:12 ]
	ds_read_u16 v178, v190 offset:2432
	ds_read_u16 v40, v190 offset:2304
	;; [unrolled: 1-line block ×3, first 2 shown]
	.loc	1 104 31                        ; attention_aot.py:104:31 @[ attention_aot.py:258:12 ]
	s_waitcnt lgkmcnt(0)
	v_perm_b32 v40, v40, v208, s82
	s_nop 1
	v_mfma_f32_32x32x8f16 v[18:33], v[40:41], v[38:39], v[18:33]
	.loc	1 56 28                         ; attention_aot.py:56:28 @[ attention_aot.py:258:12 ]
	ds_read_u16 v40, v190 offset:2176
	.loc	1 104 31                        ; attention_aot.py:104:31 @[ attention_aot.py:258:12 ]
	s_waitcnt lgkmcnt(0)
	v_perm_b32 v178, v178, v40, s82
	s_nop 1
	v_mfma_f32_32x32x8f16 v[2:17], v[178:179], v[38:39], v[2:17]
	.loc	1 56 28                         ; attention_aot.py:56:28 @[ attention_aot.py:258:12 ]
	ds_read_u16 v38, v190 offset:4608
	ds_read_u16 v39, v190 offset:4864
	.loc	1 104 31                        ; attention_aot.py:104:31 @[ attention_aot.py:258:12 ]
	s_waitcnt lgkmcnt(0)
	v_perm_b32 v39, v39, v38, s82
	.loc	1 56 28                         ; attention_aot.py:56:28 @[ attention_aot.py:258:12 ]
	ds_read_u16 v38, v190 offset:4992
	ds_read_u16 v40, v190 offset:4736
	.loc	1 104 31                        ; attention_aot.py:104:31 @[ attention_aot.py:258:12 ]
	s_waitcnt lgkmcnt(0)
	v_perm_b32 v41, v38, v40, s82
	.loc	1 56 28                         ; attention_aot.py:56:28 @[ attention_aot.py:258:12 ]
	ds_read_u16 v40, v190 offset:4480
	ds_read_u16 v38, v190 offset:4352
	;; [unrolled: 1-line block ×3, first 2 shown]
	.loc	1 104 31                        ; attention_aot.py:104:31 @[ attention_aot.py:258:12 ]
	s_waitcnt lgkmcnt(0)
	v_perm_b32 v38, v38, v178, s82
	s_nop 1
	v_mfma_f32_32x32x8f16 v[18:33], v[38:39], v[48:49], v[18:33]
	.loc	1 56 28                         ; attention_aot.py:56:28 @[ attention_aot.py:258:12 ]
	ds_read_u16 v38, v190 offset:4224
	.loc	1 104 31                        ; attention_aot.py:104:31 @[ attention_aot.py:258:12 ]
	s_waitcnt lgkmcnt(0)
	v_perm_b32 v40, v40, v38, s82
	.loc	1 56 28                         ; attention_aot.py:56:28 @[ attention_aot.py:258:12 ]
	ds_read_u16 v38, v190 offset:6656
	ds_read_u16 v39, v190 offset:6912
	.loc	1 104 31                        ; attention_aot.py:104:31 @[ attention_aot.py:258:12 ]
	s_waitcnt lgkmcnt(0)
	v_perm_b32 v39, v39, v38, s82
	v_mfma_f32_32x32x8f16 v[2:17], v[40:41], v[48:49], v[2:17]
	.loc	1 56 28                         ; attention_aot.py:56:28 @[ attention_aot.py:258:12 ]
	ds_read_u16 v38, v190 offset:7040
	ds_read_u16 v40, v190 offset:6784
	.loc	1 104 31                        ; attention_aot.py:104:31 @[ attention_aot.py:258:12 ]
	s_waitcnt lgkmcnt(0)
	v_perm_b32 v41, v38, v40, s82
	.loc	1 56 28                         ; attention_aot.py:56:28 @[ attention_aot.py:258:12 ]
	ds_read_u16 v40, v190 offset:6528
	ds_read_u16 v38, v190 offset:6400
	;; [unrolled: 1-line block ×3, first 2 shown]
	.loc	1 104 31                        ; attention_aot.py:104:31 @[ attention_aot.py:258:12 ]
	s_waitcnt lgkmcnt(0)
	v_perm_b32 v38, v38, v48, s82
	s_nop 1
	v_mfma_f32_32x32x8f16 v[18:33], v[38:39], v[46:47], v[18:33]
	.loc	1 56 28                         ; attention_aot.py:56:28 @[ attention_aot.py:258:12 ]
	ds_read_u16 v38, v190 offset:6272
	.loc	1 104 31                        ; attention_aot.py:104:31 @[ attention_aot.py:258:12 ]
	s_waitcnt lgkmcnt(0)
	v_perm_b32 v40, v40, v38, s82
	.loc	1 56 28                         ; attention_aot.py:56:28 @[ attention_aot.py:258:12 ]
	ds_read_u16 v38, v190 offset:8704
	ds_read_u16 v39, v190 offset:8960
	.loc	1 104 31                        ; attention_aot.py:104:31 @[ attention_aot.py:258:12 ]
	s_waitcnt lgkmcnt(0)
	v_perm_b32 v39, v39, v38, s82
	v_mfma_f32_32x32x8f16 v[2:17], v[40:41], v[46:47], v[2:17]
	.loc	1 56 28                         ; attention_aot.py:56:28 @[ attention_aot.py:258:12 ]
	ds_read_u16 v38, v190 offset:9088
	ds_read_u16 v40, v190 offset:8832
	.loc	1 104 31                        ; attention_aot.py:104:31 @[ attention_aot.py:258:12 ]
	s_waitcnt lgkmcnt(0)
	v_perm_b32 v41, v38, v40, s82
	.loc	1 56 28                         ; attention_aot.py:56:28 @[ attention_aot.py:258:12 ]
	ds_read_u16 v40, v190 offset:8576
	ds_read_u16 v38, v190 offset:8448
	;; [unrolled: 1-line block ×3, first 2 shown]
	.loc	1 104 31                        ; attention_aot.py:104:31 @[ attention_aot.py:258:12 ]
	s_waitcnt lgkmcnt(0)
	v_perm_b32 v38, v38, v46, s82
	.loc	1 56 28                         ; attention_aot.py:56:28 @[ attention_aot.py:258:12 ]
	ds_read_u16 v46, v190 offset:14464
	.loc	1 104 31                        ; attention_aot.py:104:31 @[ attention_aot.py:258:12 ]
	s_nop 0
	v_mfma_f32_32x32x8f16 v[18:33], v[38:39], v[44:45], v[18:33]
	.loc	1 56 28                         ; attention_aot.py:56:28 @[ attention_aot.py:258:12 ]
	ds_read_u16 v38, v190 offset:8320
	.loc	1 104 31                        ; attention_aot.py:104:31 @[ attention_aot.py:258:12 ]
	s_waitcnt lgkmcnt(0)
	v_perm_b32 v40, v40, v38, s82
	.loc	1 56 28                         ; attention_aot.py:56:28 @[ attention_aot.py:258:12 ]
	ds_read_u16 v38, v190 offset:10752
	ds_read_u16 v39, v190 offset:11008
	.loc	1 104 31                        ; attention_aot.py:104:31 @[ attention_aot.py:258:12 ]
	s_waitcnt lgkmcnt(0)
	v_perm_b32 v39, v39, v38, s82
	v_mfma_f32_32x32x8f16 v[2:17], v[40:41], v[44:45], v[2:17]
	.loc	1 56 28                         ; attention_aot.py:56:28 @[ attention_aot.py:258:12 ]
	ds_read_u16 v38, v190 offset:11136
	ds_read_u16 v40, v190 offset:10880
	;; [unrolled: 1-line block ×3, first 2 shown]
	.loc	1 104 31                        ; attention_aot.py:104:31 @[ attention_aot.py:258:12 ]
	s_waitcnt lgkmcnt(1)
	v_perm_b32 v41, v38, v40, s82
	.loc	1 56 28                         ; attention_aot.py:56:28 @[ attention_aot.py:258:12 ]
	ds_read_u16 v40, v190 offset:10624
	ds_read_u16 v38, v190 offset:10496
	;; [unrolled: 1-line block ×3, first 2 shown]
	.loc	1 104 31                        ; attention_aot.py:104:31 @[ attention_aot.py:258:12 ]
	s_waitcnt lgkmcnt(0)
	v_perm_b32 v38, v38, v44, s82
	.loc	1 56 28                         ; attention_aot.py:56:28 @[ attention_aot.py:258:12 ]
	ds_read_u16 v44, v190 offset:14976
	.loc	1 104 31                        ; attention_aot.py:104:31 @[ attention_aot.py:258:12 ]
	s_nop 0
	v_mfma_f32_32x32x8f16 v[18:33], v[38:39], v[42:43], v[18:33]
	.loc	1 56 28                         ; attention_aot.py:56:28 @[ attention_aot.py:258:12 ]
	ds_read_u16 v38, v190 offset:10368
	.loc	1 104 31                        ; attention_aot.py:104:31 @[ attention_aot.py:258:12 ]
	s_waitcnt lgkmcnt(0)
	v_perm_b32 v40, v40, v38, s82
	.loc	1 56 28                         ; attention_aot.py:56:28 @[ attention_aot.py:258:12 ]
	ds_read_u16 v38, v190 offset:12800
	ds_read_u16 v39, v190 offset:13056
	.loc	1 104 31                        ; attention_aot.py:104:31 @[ attention_aot.py:258:12 ]
	s_waitcnt lgkmcnt(0)
	v_perm_b32 v39, v39, v38, s82
	v_mfma_f32_32x32x8f16 v[2:17], v[40:41], v[42:43], v[2:17]
	.loc	1 56 28                         ; attention_aot.py:56:28 @[ attention_aot.py:258:12 ]
	ds_read_u16 v38, v190 offset:12544
	ds_read_u16 v40, v190 offset:12288
	;; [unrolled: 1-line block ×5, first 2 shown]
	.loc	1 104 31                        ; attention_aot.py:104:31 @[ attention_aot.py:258:12 ]
	s_waitcnt lgkmcnt(3)
	v_perm_b32 v38, v38, v40, s82
	s_nop 1
	v_mfma_f32_32x32x8f16 v[18:33], v[38:39], v[36:37], v[18:33]
	.loc	1 56 28                         ; attention_aot.py:56:28 @[ attention_aot.py:258:12 ]
	ds_read_u16 v38, v190 offset:14848
	ds_read_u16 v39, v190 offset:15104
	.loc	1 104 31                        ; attention_aot.py:104:31 @[ attention_aot.py:258:12 ]
	s_waitcnt lgkmcnt(0)
	v_perm_b32 v39, v39, v38, s82
	.loc	1 56 28                         ; attention_aot.py:56:28 @[ attention_aot.py:258:12 ]
	ds_read_u16 v38, v190 offset:14592
	ds_read_u16 v40, v190 offset:14336
	.loc	1 104 31                        ; attention_aot.py:104:31 @[ attention_aot.py:258:12 ]
	s_waitcnt lgkmcnt(0)
	v_perm_b32 v38, v38, v40, s82
	.loc	1 56 28                         ; attention_aot.py:56:28 @[ attention_aot.py:258:12 ]
	ds_read_u16 v40, v190 offset:12928
	.loc	1 104 31                        ; attention_aot.py:104:31 @[ attention_aot.py:258:12 ]
	s_nop 0
	v_mfma_f32_32x32x8f16 v[18:33], v[38:39], v[34:35], v[18:33]
.Ltmp182:
	.loc	2 263 15                        ; standard.py:263:15 @[ standard.py:293:36 @[ attention_aot.py:90:25 @[ attention_aot.py:258:12 ] ] ]
	v_add_f32_e32 v38, v169, v170
	v_add_f32_e32 v38, v171, v38
	;; [unrolled: 1-line block ×15, first 2 shown]
.Ltmp183:
	.loc	1 56 28                         ; attention_aot.py:56:28 @[ attention_aot.py:258:12 ]
	ds_read_u16 v39, v190 offset:13184
.Ltmp184:
	.loc	2 263 15                        ; standard.py:263:15 @[ standard.py:293:36 @[ attention_aot.py:90:25 @[ attention_aot.py:258:12 ] ] ]
	v_add_f32_e32 v38, v146, v38
	v_add_f32_e32 v38, v147, v38
	;; [unrolled: 1-line block ×6, first 2 shown]
.Ltmp185:
	.loc	1 104 31                        ; attention_aot.py:104:31 @[ attention_aot.py:258:12 ]
	s_waitcnt lgkmcnt(0)
	v_perm_b32 v39, v39, v40, s82
	v_perm_b32 v38, v41, v42, s82
.Ltmp186:
	.loc	2 263 15                        ; standard.py:263:15 @[ standard.py:293:36 @[ attention_aot.py:90:25 @[ attention_aot.py:258:12 ] ] ]
	v_add_f32_e32 v40, v151, v47
	v_add_f32_e32 v40, v153, v40
	;; [unrolled: 1-line block ×4, first 2 shown]
.Ltmp187:
	.loc	1 104 31                        ; attention_aot.py:104:31 @[ attention_aot.py:258:12 ]
	v_mfma_f32_32x32x8f16 v[2:17], v[38:39], v[36:37], v[2:17]
.Ltmp188:
	.loc	2 263 15                        ; standard.py:263:15 @[ standard.py:293:36 @[ attention_aot.py:90:25 @[ attention_aot.py:258:12 ] ] ]
	v_add_f32_e32 v36, v155, v40
	v_add_f32_e32 v36, v157, v36
	;; [unrolled: 1-line block ×6, first 2 shown]
.Ltmp189:
	.loc	2 293 36                        ; standard.py:293:36 @[ attention_aot.py:90:25 @[ attention_aot.py:258:12 ] ]
	ds_bpermute_b32 v37, v193, v36
.Ltmp190:
	.loc	1 104 31                        ; attention_aot.py:104:31 @[ attention_aot.py:258:12 ]
	v_perm_b32 v39, v43, v44, s82
	v_perm_b32 v38, v45, v46, s82
.Ltmp191:
	.loc	2 263 15                        ; standard.py:263:15 @[ standard.py:293:36 @[ attention_aot.py:90:25 @[ attention_aot.py:258:12 ] ] ]
	s_waitcnt lgkmcnt(0)
	v_add_f32_e32 v36, v36, v37
.Ltmp192:
	.loc	1 50 33                         ; attention_aot.py:50:33 @[ attention_aot.py:258:12 ]
	v_mov_b32_e32 v37, s75
	v_addc_co_u32_e32 v1, vcc, v1, v37, vcc
	v_add_co_u32_e32 v82, vcc, s74, v82
	v_addc_co_u32_e32 v83, vcc, v83, v37, vcc
	v_add_co_u32_e32 v84, vcc, s74, v84
	;; [unrolled: 2-line block ×15, first 2 shown]
	v_addc_co_u32_e32 v111, vcc, v111, v37, vcc
	.loc	1 104 31                        ; attention_aot.py:104:31 @[ attention_aot.py:258:12 ]
	v_mfma_f32_32x32x8f16 v[2:17], v[38:39], v[34:35], v[2:17]
	.loc	1 50 33                         ; attention_aot.py:50:33 @[ attention_aot.py:258:12 ]
	v_mov_b32_e32 v34, s77
	v_add_co_u32_e32 v112, vcc, s76, v112
	v_addc_co_u32_e32 v113, vcc, v113, v34, vcc
	v_add_co_u32_e32 v114, vcc, s76, v114
	v_addc_co_u32_e32 v115, vcc, v115, v34, vcc
	;; [unrolled: 2-line block ×15, first 2 shown]
	.loc	1 93 28                         ; attention_aot.py:93:28 @[ attention_aot.py:258:12 ]
	v_fmac_f32_e32 v36, v207, v145
	.loc	1 50 33                         ; attention_aot.py:50:33 @[ attention_aot.py:258:12 ]
	v_add_co_u32_e32 v142, vcc, s76, v142
	v_addc_co_u32_e32 v143, vcc, v143, v34, vcc
	v_mov_b32_e32 v207, v36
	s_cbranch_scc0 .LBB0_134
.LBB0_70:                               ; =>This Inner Loop Header: Depth=1
	.loc	1 51 34                         ; attention_aot.py:51:34 @[ attention_aot.py:258:12 ]
	v_add_u32_e32 v34, s81, v189
	.loc	1 51 44 is_stmt 0               ; attention_aot.py:51:44 @[ attention_aot.py:258:12 ]
	v_cmp_gt_i32_e32 vcc, s80, v34
	v_mov_b32_e32 v34, 0
	.loc	1 54 22 is_stmt 1               ; attention_aot.py:54:22 @[ attention_aot.py:258:12 ]
	s_and_saveexec_b64 s[2:3], vcc
	s_cbranch_execz .LBB0_72
; %bb.71:                               ;   in Loop: Header=BB0_70 Depth=1
	.loc	1 51 34                         ; attention_aot.py:51:34 @[ attention_aot.py:258:12 ]
	v_mov_b32_e32 v35, s73
	v_add_co_u32_e64 v34, s[0:1], s72, v142
	v_addc_co_u32_e64 v35, s[0:1], v143, v35, s[0:1]
	.loc	1 54 22                         ; attention_aot.py:54:22 @[ attention_aot.py:258:12 ]
	global_load_ushort v34, v[34:35], off
.LBB0_72:                               ;   in Loop: Header=BB0_70 Depth=1
	.loc	1 0 22 is_stmt 0                ; attention_aot.py:0:22
	s_or_b64 exec, exec, s[2:3]
	v_mov_b32_e32 v35, 0
	v_mov_b32_e32 v36, 0
	.loc	1 54 22                         ; attention_aot.py:54:22 @[ attention_aot.py:258:12 ]
	s_and_saveexec_b64 s[2:3], vcc
	s_cbranch_execz .LBB0_74
; %bb.73:                               ;   in Loop: Header=BB0_70 Depth=1
	.loc	1 51 34 is_stmt 1               ; attention_aot.py:51:34 @[ attention_aot.py:258:12 ]
	v_mov_b32_e32 v37, s73
	v_add_co_u32_e64 v36, s[0:1], s72, v140
	v_addc_co_u32_e64 v37, s[0:1], v141, v37, s[0:1]
	.loc	1 54 22                         ; attention_aot.py:54:22 @[ attention_aot.py:258:12 ]
	global_load_ushort v36, v[36:37], off
.LBB0_74:                               ;   in Loop: Header=BB0_70 Depth=1
	.loc	1 0 22 is_stmt 0                ; attention_aot.py:0:22
	s_or_b64 exec, exec, s[2:3]
	.loc	1 54 22                         ; attention_aot.py:54:22 @[ attention_aot.py:258:12 ]
	s_and_saveexec_b64 s[2:3], vcc
	s_cbranch_execz .LBB0_76
; %bb.75:                               ;   in Loop: Header=BB0_70 Depth=1
	.loc	1 51 34 is_stmt 1               ; attention_aot.py:51:34 @[ attention_aot.py:258:12 ]
	v_mov_b32_e32 v35, s73
	v_add_co_u32_e64 v38, s[0:1], s72, v138
	v_addc_co_u32_e64 v39, s[0:1], v139, v35, s[0:1]
	.loc	1 54 22                         ; attention_aot.py:54:22 @[ attention_aot.py:258:12 ]
	global_load_ushort v35, v[38:39], off
.LBB0_76:                               ;   in Loop: Header=BB0_70 Depth=1
	.loc	1 0 22 is_stmt 0                ; attention_aot.py:0:22
	s_or_b64 exec, exec, s[2:3]
	v_mov_b32_e32 v37, 0
	v_mov_b32_e32 v38, 0
	.loc	1 54 22                         ; attention_aot.py:54:22 @[ attention_aot.py:258:12 ]
	s_and_saveexec_b64 s[2:3], vcc
	s_cbranch_execz .LBB0_78
; %bb.77:                               ;   in Loop: Header=BB0_70 Depth=1
	.loc	1 51 34 is_stmt 1               ; attention_aot.py:51:34 @[ attention_aot.py:258:12 ]
	v_mov_b32_e32 v39, s73
	v_add_co_u32_e64 v38, s[0:1], s72, v136
	v_addc_co_u32_e64 v39, s[0:1], v137, v39, s[0:1]
	.loc	1 54 22                         ; attention_aot.py:54:22 @[ attention_aot.py:258:12 ]
	global_load_ushort v38, v[38:39], off
.LBB0_78:                               ;   in Loop: Header=BB0_70 Depth=1
	.loc	1 0 22 is_stmt 0                ; attention_aot.py:0:22
	s_or_b64 exec, exec, s[2:3]
	.loc	1 54 22                         ; attention_aot.py:54:22 @[ attention_aot.py:258:12 ]
	s_and_saveexec_b64 s[2:3], vcc
	s_cbranch_execz .LBB0_80
; %bb.79:                               ;   in Loop: Header=BB0_70 Depth=1
	.loc	1 51 34 is_stmt 1               ; attention_aot.py:51:34 @[ attention_aot.py:258:12 ]
	v_mov_b32_e32 v37, s73
	v_add_co_u32_e64 v40, s[0:1], s72, v134
	v_addc_co_u32_e64 v41, s[0:1], v135, v37, s[0:1]
	.loc	1 54 22                         ; attention_aot.py:54:22 @[ attention_aot.py:258:12 ]
	global_load_ushort v37, v[40:41], off
.LBB0_80:                               ;   in Loop: Header=BB0_70 Depth=1
	;; [unrolled: 28-line block ×6, first 2 shown]
	.loc	1 0 22 is_stmt 0                ; attention_aot.py:0:22
	s_or_b64 exec, exec, s[2:3]
	v_mov_b32_e32 v47, 0
	v_mov_b32_e32 v48, 0
	.loc	1 54 22                         ; attention_aot.py:54:22 @[ attention_aot.py:258:12 ]
	s_and_saveexec_b64 s[2:3], vcc
	s_cbranch_execz .LBB0_98
; %bb.97:                               ;   in Loop: Header=BB0_70 Depth=1
	.loc	1 51 34 is_stmt 1               ; attention_aot.py:51:34 @[ attention_aot.py:258:12 ]
	v_mov_b32_e32 v49, s73
	v_add_co_u32_e64 v48, s[0:1], s72, v116
	v_addc_co_u32_e64 v49, s[0:1], v117, v49, s[0:1]
	.loc	1 54 22                         ; attention_aot.py:54:22 @[ attention_aot.py:258:12 ]
	global_load_ushort v48, v[48:49], off
.LBB0_98:                               ;   in Loop: Header=BB0_70 Depth=1
	.loc	1 0 22 is_stmt 0                ; attention_aot.py:0:22
	s_or_b64 exec, exec, s[2:3]
	.loc	1 54 22                         ; attention_aot.py:54:22 @[ attention_aot.py:258:12 ]
	s_and_saveexec_b64 s[2:3], vcc
	s_cbranch_execz .LBB0_100
; %bb.99:                               ;   in Loop: Header=BB0_70 Depth=1
	.loc	1 51 34 is_stmt 1               ; attention_aot.py:51:34 @[ attention_aot.py:258:12 ]
	v_mov_b32_e32 v47, s73
	v_add_co_u32_e64 v144, s[0:1], s72, v114
	v_addc_co_u32_e64 v145, s[0:1], v115, v47, s[0:1]
	.loc	1 54 22                         ; attention_aot.py:54:22 @[ attention_aot.py:258:12 ]
	global_load_ushort v47, v[144:145], off
.LBB0_100:                              ;   in Loop: Header=BB0_70 Depth=1
	.loc	1 0 22 is_stmt 0                ; attention_aot.py:0:22
	s_or_b64 exec, exec, s[2:3]
	v_mov_b32_e32 v208, 0
	v_mov_b32_e32 v49, 0
	.loc	1 54 22                         ; attention_aot.py:54:22 @[ attention_aot.py:258:12 ]
	s_and_saveexec_b64 s[0:1], vcc
	s_cbranch_execz .LBB0_102
; %bb.101:                              ;   in Loop: Header=BB0_70 Depth=1
	.loc	1 51 34 is_stmt 1               ; attention_aot.py:51:34 @[ attention_aot.py:258:12 ]
	v_mov_b32_e32 v49, s73
	v_add_co_u32_e32 v144, vcc, s72, v112
	v_addc_co_u32_e32 v145, vcc, v113, v49, vcc
	.loc	1 54 22                         ; attention_aot.py:54:22 @[ attention_aot.py:258:12 ]
	global_load_ushort v49, v[144:145], off
.LBB0_102:                              ;   in Loop: Header=BB0_70 Depth=1
	.loc	1 0 22 is_stmt 0                ; attention_aot.py:0:22
	s_or_b64 exec, exec, s[0:1]
	.loc	1 51 34 is_stmt 1               ; attention_aot.py:51:34 @[ attention_aot.py:258:12 ]
	v_add_u32_e32 v144, s81, v181
	.loc	1 51 44 is_stmt 0               ; attention_aot.py:51:44 @[ attention_aot.py:258:12 ]
	v_cmp_gt_i32_e32 vcc, s80, v144
	.loc	1 56 28 is_stmt 1               ; attention_aot.py:56:28 @[ attention_aot.py:258:12 ]
	s_and_saveexec_b64 s[0:1], vcc
	s_cbranch_execz .LBB0_104
; %bb.103:                              ;   in Loop: Header=BB0_70 Depth=1
	.loc	1 51 34                         ; attention_aot.py:51:34 @[ attention_aot.py:258:12 ]
	v_mov_b32_e32 v145, s73
	v_add_co_u32_e32 v146, vcc, s72, v110
	v_addc_co_u32_e32 v147, vcc, v111, v145, vcc
	.loc	1 56 28                         ; attention_aot.py:56:28 @[ attention_aot.py:258:12 ]
	global_load_ushort v208, v[146:147], off
.LBB0_104:                              ;   in Loop: Header=BB0_70 Depth=1
	.loc	1 0 28 is_stmt 0                ; attention_aot.py:0:28
	s_or_b64 exec, exec, s[0:1]
	.loc	1 51 34 is_stmt 1               ; attention_aot.py:51:34 @[ attention_aot.py:258:12 ]
	v_add_u32_e32 v145, 4, v144
	.loc	1 51 44 is_stmt 0               ; attention_aot.py:51:44 @[ attention_aot.py:258:12 ]
	v_cmp_gt_i32_e32 vcc, s80, v145
	v_mov_b32_e32 v209, 0
	v_mov_b32_e32 v210, 0
	.loc	1 56 28 is_stmt 1               ; attention_aot.py:56:28 @[ attention_aot.py:258:12 ]
	s_and_saveexec_b64 s[0:1], vcc
	s_cbranch_execz .LBB0_106
; %bb.105:                              ;   in Loop: Header=BB0_70 Depth=1
	.loc	1 51 34                         ; attention_aot.py:51:34 @[ attention_aot.py:258:12 ]
	v_mov_b32_e32 v145, s73
	v_add_co_u32_e32 v146, vcc, s72, v108
	v_addc_co_u32_e32 v147, vcc, v109, v145, vcc
	.loc	1 56 28                         ; attention_aot.py:56:28 @[ attention_aot.py:258:12 ]
	global_load_ushort v210, v[146:147], off
.LBB0_106:                              ;   in Loop: Header=BB0_70 Depth=1
	.loc	1 0 28 is_stmt 0                ; attention_aot.py:0:28
	s_or_b64 exec, exec, s[0:1]
	.loc	1 51 34 is_stmt 1               ; attention_aot.py:51:34 @[ attention_aot.py:258:12 ]
	v_add_u32_e32 v145, 8, v144
	.loc	1 51 44 is_stmt 0               ; attention_aot.py:51:44 @[ attention_aot.py:258:12 ]
	v_cmp_gt_i32_e32 vcc, s80, v145
	.loc	1 56 28 is_stmt 1               ; attention_aot.py:56:28 @[ attention_aot.py:258:12 ]
	s_and_saveexec_b64 s[0:1], vcc
	s_cbranch_execz .LBB0_108
; %bb.107:                              ;   in Loop: Header=BB0_70 Depth=1
	.loc	1 51 34                         ; attention_aot.py:51:34 @[ attention_aot.py:258:12 ]
	v_mov_b32_e32 v145, s73
	v_add_co_u32_e32 v146, vcc, s72, v106
	v_addc_co_u32_e32 v147, vcc, v107, v145, vcc
	.loc	1 56 28                         ; attention_aot.py:56:28 @[ attention_aot.py:258:12 ]
	global_load_ushort v209, v[146:147], off
.LBB0_108:                              ;   in Loop: Header=BB0_70 Depth=1
	.loc	1 0 28 is_stmt 0                ; attention_aot.py:0:28
	s_or_b64 exec, exec, s[0:1]
	.loc	1 51 34 is_stmt 1               ; attention_aot.py:51:34 @[ attention_aot.py:258:12 ]
	v_add_u32_e32 v145, 12, v144
	.loc	1 51 44 is_stmt 0               ; attention_aot.py:51:44 @[ attention_aot.py:258:12 ]
	v_cmp_gt_i32_e32 vcc, s80, v145
	v_mov_b32_e32 v211, 0
	v_mov_b32_e32 v212, 0
	.loc	1 56 28 is_stmt 1               ; attention_aot.py:56:28 @[ attention_aot.py:258:12 ]
	s_and_saveexec_b64 s[0:1], vcc
	s_cbranch_execz .LBB0_110
; %bb.109:                              ;   in Loop: Header=BB0_70 Depth=1
	.loc	1 51 34                         ; attention_aot.py:51:34 @[ attention_aot.py:258:12 ]
	v_mov_b32_e32 v145, s73
	v_add_co_u32_e32 v146, vcc, s72, v104
	v_addc_co_u32_e32 v147, vcc, v105, v145, vcc
	.loc	1 56 28                         ; attention_aot.py:56:28 @[ attention_aot.py:258:12 ]
	global_load_ushort v212, v[146:147], off
.LBB0_110:                              ;   in Loop: Header=BB0_70 Depth=1
	;; [unrolled: 36-line block ×7, first 2 shown]
	.loc	1 0 28 is_stmt 0                ; attention_aot.py:0:28
	s_or_b64 exec, exec, s[0:1]
	.loc	1 51 34 is_stmt 1               ; attention_aot.py:51:34 @[ attention_aot.py:258:12 ]
	v_add_u32_e32 v145, 56, v144
	.loc	1 51 44 is_stmt 0               ; attention_aot.py:51:44 @[ attention_aot.py:258:12 ]
	v_cmp_gt_i32_e32 vcc, s80, v145
	.loc	1 56 28 is_stmt 1               ; attention_aot.py:56:28 @[ attention_aot.py:258:12 ]
	s_and_saveexec_b64 s[0:1], vcc
	s_cbranch_execz .LBB0_132
; %bb.131:                              ;   in Loop: Header=BB0_70 Depth=1
	.loc	1 51 34                         ; attention_aot.py:51:34 @[ attention_aot.py:258:12 ]
	v_mov_b32_e32 v145, s73
	v_add_co_u32_e32 v146, vcc, s72, v82
	v_addc_co_u32_e32 v147, vcc, v83, v145, vcc
	.loc	1 56 28                         ; attention_aot.py:56:28 @[ attention_aot.py:258:12 ]
	global_load_ushort v222, v[146:147], off
.LBB0_132:                              ;   in Loop: Header=BB0_70 Depth=1
	.loc	1 0 28 is_stmt 0                ; attention_aot.py:0:28
	s_or_b64 exec, exec, s[0:1]
	.loc	1 51 44 is_stmt 1               ; attention_aot.py:51:44 @[ attention_aot.py:258:12 ]
	v_add_u32_e32 v144, 60, v144
	v_cmp_gt_i32_e32 vcc, s80, v144
	v_mov_b32_e32 v224, 0
	.loc	1 56 28                         ; attention_aot.py:56:28 @[ attention_aot.py:258:12 ]
	s_and_saveexec_b64 s[0:1], vcc
	s_cbranch_execz .LBB0_69
; %bb.133:                              ;   in Loop: Header=BB0_70 Depth=1
	.loc	1 51 34                         ; attention_aot.py:51:34 @[ attention_aot.py:258:12 ]
	v_mov_b32_e32 v145, s73
	v_add_co_u32_e32 v144, vcc, s72, v0
	v_addc_co_u32_e32 v145, vcc, v1, v145, vcc
	.loc	1 56 28                         ; attention_aot.py:56:28 @[ attention_aot.py:258:12 ]
	global_load_ushort v224, v[144:145], off
	s_branch .LBB0_69
.Ltmp193:
.LBB0_134:                              ; %Flow531
	.loc	1 0 28 is_stmt 0                ; attention_aot.py:0:28
	s_mov_b32 s0, 0x800000
	.loc	1 290 24 is_stmt 1              ; attention_aot.py:290:24
	v_mov_b32_e32 v0, 0x42000000
	v_cmp_gt_f32_e32 vcc, s0, v36
	v_cndmask_b32_e32 v1, 0, v0, vcc
	v_cndmask_b32_e64 v0, 0, 32, vcc
	v_ldexp_f32 v0, v36, v0
	v_log_f32_e32 v34, v0
	s_load_dwordx4 s[4:7], s[4:5], 0x78
	.loc	1 291 16                        ; attention_aot.py:291:16
	s_waitcnt lgkmcnt(0)
	s_barrier
	.loc	1 290 24                        ; attention_aot.py:290:24
	v_sub_f32_e32 v1, v34, v1
	.loc	1 291 16                        ; attention_aot.py:291:16
	v_add_u32_e32 v34, 0, v186
	v_add_u32_e32 v35, v34, v187
	v_add_u32_e32 v34, v34, v184
	ds_write_b32 v35, v36
	s_waitcnt lgkmcnt(0)
	s_barrier
	ds_read_b32 v36, v34
	.loc	1 178 33                        ; attention_aot.py:178:33
	v_or_b32_e32 v0, s79, v180
	.loc	1 179 27                        ; attention_aot.py:179:27
	v_cmp_gt_i32_e32 vcc, s78, v0
	.loc	1 293 21                        ; attention_aot.py:293:21
	v_cmp_eq_u32_e64 s[0:1], 0, v184
	.loc	1 290 11                        ; attention_aot.py:290:11
	v_add_f32_e32 v1, v144, v1
	.loc	1 293 21                        ; attention_aot.py:293:21
	s_and_b64 s[2:3], s[0:1], vcc
	s_waitcnt lgkmcnt(0)
	s_barrier
	ds_write_b32 v35, v1
	s_waitcnt lgkmcnt(0)
	s_barrier
	s_and_saveexec_b64 s[0:1], s[2:3]
	s_cbranch_execz .LBB0_136
; %bb.135:
	.loc	1 292 26                        ; attention_aot.py:292:26
	s_mul_i32 s2, s78, s16
	.loc	1 293 21                        ; attention_aot.py:293:21
	v_lshl_add_u32 v34, v180, 2, 0
	.loc	1 292 17                        ; attention_aot.py:292:17
	s_ashr_i32 s3, s2, 31
	s_lshl_b64 s[2:3], s[2:3], 2
	.loc	1 293 21                        ; attention_aot.py:293:21
	ds_read_b32 v34, v34
	.loc	1 292 17                        ; attention_aot.py:292:17
	s_add_u32 s2, s68, s2
	.loc	1 292 34 is_stmt 0              ; attention_aot.py:292:34
	v_ashrrev_i32_e32 v1, 31, v0
	.loc	1 292 17                        ; attention_aot.py:292:17
	s_addc_u32 s3, s69, s3
	.loc	1 292 34                        ; attention_aot.py:292:34
	v_lshlrev_b64 v[0:1], 2, v[0:1]
	v_mov_b32_e32 v35, s3
	v_add_co_u32_e32 v0, vcc, s2, v0
	v_addc_co_u32_e32 v1, vcc, v35, v1, vcc
	.loc	1 293 21 is_stmt 1              ; attention_aot.py:293:21
	s_waitcnt lgkmcnt(0)
	global_store_dword v[0:1], v34, off
.LBB0_136:
	.loc	1 0 21 is_stmt 0                ; attention_aot.py:0:21
	s_or_b64 exec, exec, s[0:1]
	.loc	1 175 33 is_stmt 1              ; attention_aot.py:175:33
	v_lshrrev_b32_e32 v0, 2, v184
	.loc	1 178 33                        ; attention_aot.py:178:33
	v_or3_b32 v0, v185, v0, s79
	.loc	1 179 27                        ; attention_aot.py:179:27
	v_cmp_gt_i32_e32 vcc, s78, v0
	.loc	1 294 26                        ; attention_aot.py:294:26
	s_and_saveexec_b64 s[0:1], vcc
	s_cbranch_execz .LBB0_138
; %bb.137:                              ; %.critedge
	.loc	1 291 16                        ; attention_aot.py:291:16
	v_div_scale_f32 v1, s[0:1], v36, v36, v18
	v_rcp_f32_e32 v34, v1
	v_div_scale_f32 v35, vcc, v18, v36, v18
	.loc	1 169 72                        ; attention_aot.py:169:72
	s_mul_hi_i32 s3, s17, s5
	.loc	1 291 16                        ; attention_aot.py:291:16
	v_fma_f32 v37, -v1, v34, 1.0
	v_fmac_f32_e32 v34, v37, v34
	v_mul_f32_e32 v37, v35, v34
	v_fma_f32 v38, -v1, v37, v35
	v_fmac_f32_e32 v37, v38, v34
	v_fma_f32 v1, -v1, v37, v35
	v_div_scale_f32 v35, s[0:1], v36, v36, v19
	v_rcp_f32_e32 v38, v35
	v_div_fmas_f32 v1, v1, v34, v37
	v_div_fixup_f32 v18, v1, v36, v18
	.loc	1 169 72                        ; attention_aot.py:169:72
	s_mul_i32 s2, s17, s5
	.loc	1 291 16                        ; attention_aot.py:291:16
	v_fma_f32 v1, -v35, v38, 1.0
	v_fmac_f32_e32 v38, v1, v38
	v_div_scale_f32 v1, vcc, v19, v36, v19
	v_mul_f32_e32 v34, v1, v38
	v_fma_f32 v37, -v35, v34, v1
	v_fmac_f32_e32 v34, v37, v38
	v_fma_f32 v1, -v35, v34, v1
	v_div_scale_f32 v35, s[0:1], v36, v36, v20
	v_rcp_f32_e32 v37, v35
	v_div_fmas_f32 v1, v1, v38, v34
	v_div_fixup_f32 v19, v1, v36, v19
	.loc	1 218 28                        ; attention_aot.py:218:28
	v_mul_lo_u32 v0, s6, v0
	.loc	1 291 16                        ; attention_aot.py:291:16
	v_fma_f32 v1, -v35, v37, 1.0
	v_fmac_f32_e32 v37, v1, v37
	v_div_scale_f32 v1, vcc, v20, v36, v20
	v_mul_f32_e32 v34, v1, v37
	v_fma_f32 v38, -v35, v34, v1
	v_fmac_f32_e32 v34, v38, v37
	v_fma_f32 v1, -v35, v34, v1
	v_div_scale_f32 v35, s[0:1], v36, v36, v21
	v_rcp_f32_e32 v38, v35
	v_div_fmas_f32 v1, v1, v37, v34
	v_div_fixup_f32 v20, v1, v36, v20
	.loc	1 294 33                        ; attention_aot.py:294:33
	v_cvt_f16_f32_e32 v18, v18
	.loc	1 291 16                        ; attention_aot.py:291:16
	v_fma_f32 v1, -v35, v38, 1.0
	v_fmac_f32_e32 v38, v1, v38
	v_div_scale_f32 v1, vcc, v21, v36, v21
	v_mul_f32_e32 v34, v1, v38
	v_fma_f32 v37, -v35, v34, v1
	v_fmac_f32_e32 v34, v37, v38
	v_fma_f32 v1, -v35, v34, v1
	v_div_scale_f32 v35, s[0:1], v36, v36, v22
	v_rcp_f32_e32 v37, v35
	v_div_fmas_f32 v1, v1, v38, v34
	v_div_fixup_f32 v21, v1, v36, v21
	.loc	1 294 33                        ; attention_aot.py:294:33
	v_cvt_f16_f32_e32 v19, v19
	;; [unrolled: 14-line block ×15, first 2 shown]
	.loc	1 291 16                        ; attention_aot.py:291:16
	v_fma_f32 v1, -v35, v38, 1.0
	v_fmac_f32_e32 v38, v1, v38
	v_div_scale_f32 v1, vcc, v3, v36, v3
	v_mul_f32_e32 v2, v1, v38
	v_fma_f32 v37, -v35, v2, v1
	v_fmac_f32_e32 v2, v37, v38
	v_div_scale_f32 v37, s[0:1], v36, v36, v4
	v_rcp_f32_e32 v39, v37
	v_fma_f32 v1, -v35, v2, v1
	v_div_fmas_f32 v1, v1, v38, v2
	v_div_fixup_f32 v35, v1, v36, v3
	v_fma_f32 v1, -v37, v39, 1.0
	v_fmac_f32_e32 v39, v1, v39
	v_div_scale_f32 v1, vcc, v4, v36, v4
	v_mul_f32_e32 v2, v1, v39
	v_fma_f32 v3, -v37, v2, v1
	v_fmac_f32_e32 v2, v3, v39
	v_div_scale_f32 v3, s[0:1], v36, v36, v5
	v_rcp_f32_e32 v38, v3
	v_fma_f32 v1, -v37, v2, v1
	v_div_fmas_f32 v1, v1, v39, v2
	v_div_fixup_f32 v37, v1, v36, v4
	v_fma_f32 v1, -v3, v38, 1.0
	v_fmac_f32_e32 v38, v1, v38
	v_div_scale_f32 v1, vcc, v5, v36, v5
	v_mul_f32_e32 v2, v1, v38
	v_fma_f32 v4, -v3, v2, v1
	v_fmac_f32_e32 v2, v4, v38
	v_fma_f32 v1, -v3, v2, v1
	v_div_scale_f32 v3, s[0:1], v36, v36, v6
	v_rcp_f32_e32 v4, v3
	v_div_fmas_f32 v1, v1, v38, v2
	v_div_fixup_f32 v38, v1, v36, v5
	.loc	1 294 33                        ; attention_aot.py:294:33
	v_cvt_f16_f32_e32 v38, v38
	.loc	1 291 16                        ; attention_aot.py:291:16
	v_fma_f32 v1, -v3, v4, 1.0
	v_fmac_f32_e32 v4, v1, v4
	v_div_scale_f32 v1, vcc, v6, v36, v6
	v_mul_f32_e32 v2, v1, v4
	v_fma_f32 v5, -v3, v2, v1
	v_fmac_f32_e32 v2, v5, v4
	v_fma_f32 v1, -v3, v2, v1
	v_div_scale_f32 v3, s[0:1], v36, v36, v7
	v_rcp_f32_e32 v5, v3
	v_div_fmas_f32 v1, v1, v4, v2
	v_div_fixup_f32 v39, v1, v36, v6
	.loc	1 294 33                        ; attention_aot.py:294:33
	v_cvt_f16_f32_e32 v39, v39
	.loc	1 291 16                        ; attention_aot.py:291:16
	;; [unrolled: 14-line block ×11, first 2 shown]
	v_fma_f32 v1, -v3, v4, 1.0
	v_fmac_f32_e32 v4, v1, v4
	v_div_scale_f32 v1, vcc, v16, v36, v16
	v_mul_f32_e32 v2, v1, v4
	v_fma_f32 v5, -v3, v2, v1
	v_fmac_f32_e32 v2, v5, v4
	v_fma_f32 v1, -v3, v2, v1
	v_div_scale_f32 v3, s[0:1], v36, v36, v17
	v_rcp_f32_e32 v5, v3
	v_div_fmas_f32 v1, v1, v4, v2
	v_div_fixup_f32 v95, v1, v36, v16
	.loc	1 169 32                        ; attention_aot.py:169:32
	s_mul_hi_i32 s1, s33, s4
	.loc	1 291 16                        ; attention_aot.py:291:16
	v_fma_f32 v1, -v3, v5, 1.0
	v_fmac_f32_e32 v5, v1, v5
	v_div_scale_f32 v1, vcc, v17, v36, v17
	v_mul_f32_e32 v2, v1, v5
	v_fma_f32 v4, -v3, v2, v1
	v_fmac_f32_e32 v2, v4, v5
	.loc	1 169 32                        ; attention_aot.py:169:32
	s_mul_i32 s0, s33, s4
	.loc	1 291 16                        ; attention_aot.py:291:16
	v_fma_f32 v1, -v3, v2, v1
	.loc	1 217 10                        ; attention_aot.py:217:10
	s_lshl_b64 s[0:1], s[0:1], 1
	.loc	1 291 16                        ; attention_aot.py:291:16
	v_div_fmas_f32 v1, v1, v5, v2
	.loc	1 217 10                        ; attention_aot.py:217:10
	s_add_u32 s4, s70, s0
	.loc	1 291 16                        ; attention_aot.py:291:16
	v_div_fixup_f32 v36, v1, v36, v17
	.loc	1 186 24                        ; attention_aot.py:186:24
	v_lshrrev_b32_e32 v1, 1, v183
	.loc	1 217 10                        ; attention_aot.py:217:10
	s_addc_u32 s5, s71, s1
	s_lshl_b64 s[0:1], s[2:3], 1
	.loc	1 186 24                        ; attention_aot.py:186:24
	v_or_b32_e32 v2, v182, v1
	.loc	1 217 10                        ; attention_aot.py:217:10
	s_add_u32 s0, s4, s0
	.loc	1 218 10                        ; attention_aot.py:218:10
	v_ashrrev_i32_e32 v1, 31, v0
	.loc	1 217 10                        ; attention_aot.py:217:10
	s_addc_u32 s1, s5, s1
	.loc	1 218 10                        ; attention_aot.py:218:10
	v_lshlrev_b64 v[0:1], 1, v[0:1]
	v_mov_b32_e32 v6, s1
	v_add_co_u32_e32 v96, vcc, s0, v0
	.loc	1 219 35                        ; attention_aot.py:219:35
	v_mul_lo_u32 v0, s7, v2
	.loc	1 186 24                        ; attention_aot.py:186:24
	v_or_b32_e32 v3, 1, v2
	.loc	1 218 10                        ; attention_aot.py:218:10
	v_addc_co_u32_e32 v97, vcc, v6, v1, vcc
	.loc	1 219 10                        ; attention_aot.py:219:10
	v_ashrrev_i32_e32 v1, 31, v0
	.loc	1 186 24                        ; attention_aot.py:186:24
	v_or_b32_e32 v4, 2, v2
	v_or_b32_e32 v5, 3, v2
	;; [unrolled: 1-line block ×30, first 2 shown]
	.loc	1 219 35                        ; attention_aot.py:219:35
	v_mul_lo_u32 v2, s7, v3
	.loc	1 219 10 is_stmt 0              ; attention_aot.py:219:10
	v_lshlrev_b64 v[0:1], 1, v[0:1]
	v_add_co_u32_e32 v0, vcc, v96, v0
	v_ashrrev_i32_e32 v3, 31, v2
	.loc	1 219 35                        ; attention_aot.py:219:35
	v_mul_lo_u32 v4, s7, v4
	.loc	1 219 10                        ; attention_aot.py:219:10
	v_addc_co_u32_e32 v1, vcc, v97, v1, vcc
	v_lshlrev_b64 v[2:3], 1, v[2:3]
	.loc	1 219 35                        ; attention_aot.py:219:35
	v_mul_lo_u32 v6, s7, v5
	.loc	1 219 10                        ; attention_aot.py:219:10
	v_add_co_u32_e32 v2, vcc, v96, v2
	v_ashrrev_i32_e32 v5, 31, v4
	v_addc_co_u32_e32 v3, vcc, v97, v3, vcc
	v_lshlrev_b64 v[4:5], 1, v[4:5]
	.loc	1 219 35                        ; attention_aot.py:219:35
	v_mul_lo_u32 v8, s7, v7
	.loc	1 219 10                        ; attention_aot.py:219:10
	v_add_co_u32_e32 v4, vcc, v96, v4
	v_ashrrev_i32_e32 v7, 31, v6
	;; [unrolled: 7-line block ×29, first 2 shown]
	v_addc_co_u32_e32 v83, vcc, v97, v83, vcc
	v_lshlrev_b64 v[84:85], 1, v[84:85]
	v_add_co_u32_e32 v84, vcc, v96, v84
	v_ashrrev_i32_e32 v87, 31, v86
	v_addc_co_u32_e32 v85, vcc, v97, v85, vcc
	v_lshlrev_b64 v[86:87], 1, v[86:87]
	v_add_co_u32_e32 v86, vcc, v96, v86
	v_addc_co_u32_e32 v87, vcc, v97, v87, vcc
	.loc	1 294 33 is_stmt 1              ; attention_aot.py:294:33
	v_cvt_f16_f32_e32 v36, v36
	v_cvt_f16_f32_e32 v95, v95
	;; [unrolled: 1-line block ×6, first 2 shown]
	.loc	1 294 26 is_stmt 0              ; attention_aot.py:294:26
	global_store_short v[0:1], v18, off
	global_store_short v[2:3], v19, off
	;; [unrolled: 1-line block ×32, first 2 shown]
.LBB0_138:                              ; %.critedge60
	.loc	1 294 4                         ; attention_aot.py:294:4
	s_endpgm
.Ltmp194:
	.section	.rodata,"a",@progbits
	.p2align	6, 0x0
	.amdhsa_kernel _attn_fwd
		.amdhsa_group_segment_fixed_size 0
		.amdhsa_private_segment_fixed_size 0
		.amdhsa_kernarg_size 176
		.amdhsa_user_sgpr_count 15
		.amdhsa_user_sgpr_private_segment_buffer 1
		.amdhsa_user_sgpr_dispatch_ptr 0
		.amdhsa_user_sgpr_queue_ptr 0
		.amdhsa_user_sgpr_kernarg_segment_ptr 1
		.amdhsa_user_sgpr_dispatch_id 0
		.amdhsa_user_sgpr_flat_scratch_init 0
		.amdhsa_user_sgpr_kernarg_preload_length 9
		.amdhsa_user_sgpr_kernarg_preload_offset 0
		.amdhsa_user_sgpr_private_segment_size 0
		.amdhsa_uses_dynamic_stack 0
		.amdhsa_system_sgpr_private_segment_wavefront_offset 0
		.amdhsa_system_sgpr_workgroup_id_x 1
		.amdhsa_system_sgpr_workgroup_id_y 1
		.amdhsa_system_sgpr_workgroup_id_z 0
		.amdhsa_system_sgpr_workgroup_info 0
		.amdhsa_system_vgpr_workitem_id 0
		.amdhsa_next_free_vgpr 256
		.amdhsa_next_free_sgpr 83
		.amdhsa_accum_offset 256
		.amdhsa_reserve_vcc 1
		.amdhsa_reserve_flat_scratch 0
		.amdhsa_reserve_xnack_mask 1
		.amdhsa_float_round_mode_32 0
		.amdhsa_float_round_mode_16_64 0
		.amdhsa_float_denorm_mode_32 3
		.amdhsa_float_denorm_mode_16_64 3
		.amdhsa_dx10_clamp 1
		.amdhsa_ieee_mode 1
		.amdhsa_fp16_overflow 0
		.amdhsa_tg_split 0
		.amdhsa_exception_fp_ieee_invalid_op 0
		.amdhsa_exception_fp_denorm_src 0
		.amdhsa_exception_fp_ieee_div_zero 0
		.amdhsa_exception_fp_ieee_overflow 0
		.amdhsa_exception_fp_ieee_underflow 0
		.amdhsa_exception_fp_ieee_inexact 0
		.amdhsa_exception_int_div_zero 0
	.end_amdhsa_kernel
	.text
.Lfunc_end0:
	.size	_attn_fwd, .Lfunc_end0-_attn_fwd
	.cfi_endproc
                                        ; -- End function
	.set _attn_fwd.num_vgpr, 256
	.set _attn_fwd.num_agpr, 0
	.set _attn_fwd.numbered_sgpr, 83
	.set _attn_fwd.num_named_barrier, 0
	.set _attn_fwd.private_seg_size, 0
	.set _attn_fwd.uses_vcc, 1
	.set _attn_fwd.uses_flat_scratch, 0
	.set _attn_fwd.has_dyn_sized_stack, 0
	.set _attn_fwd.has_recursion, 0
	.set _attn_fwd.has_indirect_call, 0
	.section	.AMDGPU.csdata,"",@progbits
; Kernel info:
; codeLenInByte = 16976
; TotalNumSgprs: 87
; NumVgprs: 256
; NumAgprs: 0
; TotalNumVgprs: 256
; ScratchSize: 0
; MemoryBound: 0
; FloatMode: 240
; IeeeMode: 1
; LDSByteSize: 0 bytes/workgroup (compile time only)
; SGPRBlocks: 10
; VGPRBlocks: 31
; NumSGPRsForWavesPerEU: 87
; NumVGPRsForWavesPerEU: 256
; AccumOffset: 256
; Occupancy: 2
; WaveLimiterHint : 0
; COMPUTE_PGM_RSRC2:SCRATCH_EN: 0
; COMPUTE_PGM_RSRC2:USER_SGPR: 15
; COMPUTE_PGM_RSRC2:TRAP_HANDLER: 0
; COMPUTE_PGM_RSRC2:TGID_X_EN: 1
; COMPUTE_PGM_RSRC2:TGID_Y_EN: 1
; COMPUTE_PGM_RSRC2:TGID_Z_EN: 0
; COMPUTE_PGM_RSRC2:TIDIG_COMP_CNT: 0
; COMPUTE_PGM_RSRC3_GFX90A:ACCUM_OFFSET: 63
; COMPUTE_PGM_RSRC3_GFX90A:TG_SPLIT: 0
	.text
	.p2alignl 6, 3212836864
	.fill 256, 4, 3212836864
	.section	.AMDGPU.gpr_maximums,"",@progbits
	.set amdgpu.max_num_vgpr, 0
	.set amdgpu.max_num_agpr, 0
	.set amdgpu.max_num_sgpr, 0
	.set amdgpu.max_num_named_barrier, 0
	.text
	.section	.debug_abbrev,"",@progbits
	.byte	1                               ; Abbreviation Code
	.byte	17                              ; DW_TAG_compile_unit
	.byte	1                               ; DW_CHILDREN_yes
	.byte	37                              ; DW_AT_producer
	.byte	14                              ; DW_FORM_strp
	.byte	19                              ; DW_AT_language
	.byte	5                               ; DW_FORM_data2
	.byte	3                               ; DW_AT_name
	.byte	14                              ; DW_FORM_strp
	.byte	16                              ; DW_AT_stmt_list
	.byte	23                              ; DW_FORM_sec_offset
	.byte	27                              ; DW_AT_comp_dir
	.byte	14                              ; DW_FORM_strp
	.byte	17                              ; DW_AT_low_pc
	.byte	1                               ; DW_FORM_addr
	.byte	18                              ; DW_AT_high_pc
	.byte	6                               ; DW_FORM_data4
	.byte	0                               ; EOM(1)
	.byte	0                               ; EOM(2)
	.byte	2                               ; Abbreviation Code
	.byte	46                              ; DW_TAG_subprogram
	.byte	0                               ; DW_CHILDREN_no
	.byte	3                               ; DW_AT_name
	.byte	14                              ; DW_FORM_strp
	.byte	32                              ; DW_AT_inline
	.byte	11                              ; DW_FORM_data1
	.byte	0                               ; EOM(1)
	.byte	0                               ; EOM(2)
	.byte	3                               ; Abbreviation Code
	.byte	46                              ; DW_TAG_subprogram
	.byte	1                               ; DW_CHILDREN_yes
	.byte	17                              ; DW_AT_low_pc
	.byte	1                               ; DW_FORM_addr
	.byte	18                              ; DW_AT_high_pc
	.byte	6                               ; DW_FORM_data4
	.byte	49                              ; DW_AT_abstract_origin
	.byte	19                              ; DW_FORM_ref4
	.byte	0                               ; EOM(1)
	.byte	0                               ; EOM(2)
	.byte	4                               ; Abbreviation Code
	.byte	29                              ; DW_TAG_inlined_subroutine
	.byte	1                               ; DW_CHILDREN_yes
	.byte	49                              ; DW_AT_abstract_origin
	.byte	19                              ; DW_FORM_ref4
	.byte	85                              ; DW_AT_ranges
	.byte	23                              ; DW_FORM_sec_offset
	.byte	88                              ; DW_AT_call_file
	.byte	11                              ; DW_FORM_data1
	.byte	89                              ; DW_AT_call_line
	.byte	5                               ; DW_FORM_data2
	.byte	87                              ; DW_AT_call_column
	.byte	11                              ; DW_FORM_data1
	.byte	0                               ; EOM(1)
	.byte	0                               ; EOM(2)
	.byte	5                               ; Abbreviation Code
	.byte	29                              ; DW_TAG_inlined_subroutine
	.byte	1                               ; DW_CHILDREN_yes
	.byte	49                              ; DW_AT_abstract_origin
	.byte	19                              ; DW_FORM_ref4
	.byte	85                              ; DW_AT_ranges
	.byte	23                              ; DW_FORM_sec_offset
	.byte	88                              ; DW_AT_call_file
	.byte	11                              ; DW_FORM_data1
	.byte	89                              ; DW_AT_call_line
	.byte	11                              ; DW_FORM_data1
	.byte	87                              ; DW_AT_call_column
	.byte	11                              ; DW_FORM_data1
	.byte	0                               ; EOM(1)
	.byte	0                               ; EOM(2)
	.byte	6                               ; Abbreviation Code
	.byte	29                              ; DW_TAG_inlined_subroutine
	.byte	0                               ; DW_CHILDREN_no
	.byte	49                              ; DW_AT_abstract_origin
	.byte	19                              ; DW_FORM_ref4
	.byte	85                              ; DW_AT_ranges
	.byte	23                              ; DW_FORM_sec_offset
	.byte	88                              ; DW_AT_call_file
	.byte	11                              ; DW_FORM_data1
	.byte	89                              ; DW_AT_call_line
	.byte	11                              ; DW_FORM_data1
	.byte	87                              ; DW_AT_call_column
	.byte	11                              ; DW_FORM_data1
	.byte	0                               ; EOM(1)
	.byte	0                               ; EOM(2)
	.byte	7                               ; Abbreviation Code
	.byte	29                              ; DW_TAG_inlined_subroutine
	.byte	0                               ; DW_CHILDREN_no
	.byte	49                              ; DW_AT_abstract_origin
	.byte	19                              ; DW_FORM_ref4
	.byte	85                              ; DW_AT_ranges
	.byte	23                              ; DW_FORM_sec_offset
	.byte	88                              ; DW_AT_call_file
	.byte	11                              ; DW_FORM_data1
	.byte	89                              ; DW_AT_call_line
	.byte	5                               ; DW_FORM_data2
	.byte	87                              ; DW_AT_call_column
	.byte	11                              ; DW_FORM_data1
	.byte	0                               ; EOM(1)
	.byte	0                               ; EOM(2)
	;; [unrolled: 1-line block ×3, first 2 shown]
	.section	.debug_info,"",@progbits
.Lcu_begin0:
	.long	.Ldebug_info_end0-.Ldebug_info_start0 ; Length of Unit
.Ldebug_info_start0:
	.short	4                               ; DWARF version number
	.long	.debug_abbrev                   ; Offset Into Abbrev. Section
	.byte	8                               ; Address Size (in bytes)
	.byte	1                               ; Abbrev [1] 0xb:0x79 DW_TAG_compile_unit
	.long	.Linfo_string0                  ; DW_AT_producer
	.short	2                               ; DW_AT_language
	.long	.Linfo_string1                  ; DW_AT_name
	.long	.Lline_table_start0             ; DW_AT_stmt_list
	.long	.Linfo_string2                  ; DW_AT_comp_dir
	.quad	.Lfunc_begin0                   ; DW_AT_low_pc
	.long	.Lfunc_end0-.Lfunc_begin0       ; DW_AT_high_pc
	.byte	2                               ; Abbrev [2] 0x2a:0x6 DW_TAG_subprogram
	.long	.Linfo_string3                  ; DW_AT_name
	.byte	1                               ; DW_AT_inline
	.byte	3                               ; Abbrev [3] 0x30:0x53 DW_TAG_subprogram
	.quad	.Lfunc_begin0                   ; DW_AT_low_pc
	.long	.Lfunc_end0-.Lfunc_begin0       ; DW_AT_high_pc
	.long	42                              ; DW_AT_abstract_origin
	.byte	4                               ; Abbrev [4] 0x41:0x41 DW_TAG_inlined_subroutine
	.long	42                              ; DW_AT_abstract_origin
	.long	.Ldebug_ranges0                 ; DW_AT_ranges
	.byte	1                               ; DW_AT_call_file
	.short	258                             ; DW_AT_call_line
	.byte	12                              ; DW_AT_call_column
	.byte	5                               ; Abbrev [5] 0x4e:0x19 DW_TAG_inlined_subroutine
	.long	42                              ; DW_AT_abstract_origin
	.long	.Ldebug_ranges1                 ; DW_AT_ranges
	.byte	1                               ; DW_AT_call_file
	.byte	86                              ; DW_AT_call_line
	.byte	46                              ; DW_AT_call_column
	.byte	6                               ; Abbrev [6] 0x5a:0xc DW_TAG_inlined_subroutine
	.long	42                              ; DW_AT_abstract_origin
	.long	.Ldebug_ranges2                 ; DW_AT_ranges
	.byte	2                               ; DW_AT_call_file
	.byte	191                             ; DW_AT_call_line
	.byte	40                              ; DW_AT_call_column
	.byte	0                               ; End Of Children Mark
	.byte	5                               ; Abbrev [5] 0x67:0x1a DW_TAG_inlined_subroutine
	.long	42                              ; DW_AT_abstract_origin
	.long	.Ldebug_ranges3                 ; DW_AT_ranges
	.byte	1                               ; DW_AT_call_file
	.byte	90                              ; DW_AT_call_line
	.byte	25                              ; DW_AT_call_column
	.byte	7                               ; Abbrev [7] 0x73:0xd DW_TAG_inlined_subroutine
	.long	42                              ; DW_AT_abstract_origin
	.long	.Ldebug_ranges4                 ; DW_AT_ranges
	.byte	2                               ; DW_AT_call_file
	.short	293                             ; DW_AT_call_line
	.byte	36                              ; DW_AT_call_column
	.byte	0                               ; End Of Children Mark
	.byte	0                               ; End Of Children Mark
	;; [unrolled: 1-line block ×4, first 2 shown]
.Ldebug_info_end0:
	.section	.debug_ranges,"",@progbits
.Ldebug_ranges0:
	.quad	.Ltmp2-.Lfunc_begin0
	.quad	.Ltmp3-.Lfunc_begin0
	;; [unrolled: 1-line block ×148, first 2 shown]
	.quad	0
	.quad	0
.Ldebug_ranges1:
	.quad	.Ltmp149-.Lfunc_begin0
	.quad	.Ltmp150-.Lfunc_begin0
	;; [unrolled: 1-line block ×32, first 2 shown]
	.quad	0
	.quad	0
.Ldebug_ranges2:
	.quad	.Ltmp149-.Lfunc_begin0
	.quad	.Ltmp150-.Lfunc_begin0
	;; [unrolled: 1-line block ×32, first 2 shown]
	.quad	0
	.quad	0
.Ldebug_ranges3:
	.quad	.Ltmp182-.Lfunc_begin0
	.quad	.Ltmp183-.Lfunc_begin0
	;; [unrolled: 1-line block ×10, first 2 shown]
	.quad	0
	.quad	0
.Ldebug_ranges4:
	.quad	.Ltmp182-.Lfunc_begin0
	.quad	.Ltmp183-.Lfunc_begin0
	;; [unrolled: 1-line block ×10, first 2 shown]
	.quad	0
	.quad	0
	.section	.debug_str,"MS",@progbits,1
.Linfo_string0:
	.asciz	"triton"                        ; string offset=0
.Linfo_string1:
	.asciz	"attention_aot.py"              ; string offset=7
.Linfo_string2:
	.asciz	"/root/src/amdgpu-assembly/repos/FlagOpen__FlagGems/triton_aot_kernels" ; string offset=24
.Linfo_string3:
	.asciz	"_attn_fwd"                     ; string offset=94
	.section	".note.GNU-stack","",@progbits
	.amdgpu_metadata
---
amdhsa.kernels:
  - .agpr_count:     0
    .args:
      - .address_space:  global
        .offset:         0
        .size:           8
        .value_kind:     global_buffer
      - .address_space:  global
        .offset:         8
        .size:           8
        .value_kind:     global_buffer
      - .address_space:  global
        .offset:         16
        .size:           8
        .value_kind:     global_buffer
      - .address_space:  global
        .offset:         24
        .size:           8
        .value_kind:     global_buffer
      - .offset:         32
        .size:           4
        .value_kind:     by_value
      - .address_space:  global
        .offset:         40
        .size:           8
        .value_kind:     global_buffer
      - .address_space:  global
        .offset:         48
        .size:           8
        .value_kind:     global_buffer
      - .offset:         56
        .size:           4
        .value_kind:     by_value
      - .offset:         60
        .size:           4
        .value_kind:     by_value
      - .offset:         64
        .size:           4
        .value_kind:     by_value
      - .offset:         68
        .size:           4
        .value_kind:     by_value
      - .offset:         72
        .size:           4
        .value_kind:     by_value
      - .offset:         76
        .size:           4
        .value_kind:     by_value
      - .offset:         80
        .size:           4
        .value_kind:     by_value
      - .offset:         84
        .size:           4
        .value_kind:     by_value
      - .offset:         88
        .size:           4
        .value_kind:     by_value
      - .offset:         92
        .size:           4
        .value_kind:     by_value
      - .offset:         96
        .size:           4
        .value_kind:     by_value
      - .offset:         100
        .size:           4
        .value_kind:     by_value
      - .offset:         104
        .size:           4
        .value_kind:     by_value
      - .offset:         108
        .size:           4
        .value_kind:     by_value
      - .offset:         112
        .size:           4
        .value_kind:     by_value
      - .offset:         116
        .size:           4
        .value_kind:     by_value
      - .offset:         120
        .size:           4
        .value_kind:     by_value
      - .offset:         124
        .size:           4
        .value_kind:     by_value
      - .offset:         128
        .size:           4
        .value_kind:     by_value
      - .offset:         132
        .size:           4
        .value_kind:     by_value
      - .offset:         136
        .size:           4
        .value_kind:     by_value
      - .offset:         140
        .size:           4
        .value_kind:     by_value
      - .offset:         144
        .size:           4
        .value_kind:     by_value
      - .offset:         148
        .size:           4
        .value_kind:     by_value
      - .offset:         152
        .size:           4
        .value_kind:     by_value
      - .address_space:  global
        .offset:         160
        .size:           8
        .value_kind:     global_buffer
      - .address_space:  global
        .offset:         168
        .size:           8
        .value_kind:     global_buffer
    .group_segment_fixed_size: 0
    .kernarg_segment_align: 8
    .kernarg_segment_size: 176
    .max_flat_workgroup_size: 512
    .name:           _attn_fwd
    .private_segment_fixed_size: 0
    .sgpr_count:     87
    .sgpr_spill_count: 0
    .symbol:         _attn_fwd.kd
    .uniform_work_group_size: 1
    .uses_dynamic_stack: false
    .vgpr_count:     256
    .vgpr_spill_count: 0
    .wavefront_size: 64
amdhsa.target:   amdgcn-amd-amdhsa--gfx90a
amdhsa.version:
  - 1
  - 2
...

	.end_amdgpu_metadata
	.section	.debug_line,"",@progbits
.Lline_table_start0:
